;; amdgpu-corpus repo=LLNL/RAJAPerf kind=compiled arch=gfx1250 opt=O3
	.amdgcn_target "amdgcn-amd-amdhsa--gfx1250"
	.amdhsa_code_object_version 6
	.section	.text._ZN7rocprim6detail21init_histogram_kernelINS0_24wrapped_histogram_configINS_14default_configElLj1ELj1EEELj1EyEEvNS0_11fixed_arrayIPT1_XT0_EEENS5_IjXT0_EEE,"axG",@progbits,_ZN7rocprim6detail21init_histogram_kernelINS0_24wrapped_histogram_configINS_14default_configElLj1ELj1EEELj1EyEEvNS0_11fixed_arrayIPT1_XT0_EEENS5_IjXT0_EEE,comdat
	.protected	_ZN7rocprim6detail21init_histogram_kernelINS0_24wrapped_histogram_configINS_14default_configElLj1ELj1EEELj1EyEEvNS0_11fixed_arrayIPT1_XT0_EEENS5_IjXT0_EEE ; -- Begin function _ZN7rocprim6detail21init_histogram_kernelINS0_24wrapped_histogram_configINS_14default_configElLj1ELj1EEELj1EyEEvNS0_11fixed_arrayIPT1_XT0_EEENS5_IjXT0_EEE
	.globl	_ZN7rocprim6detail21init_histogram_kernelINS0_24wrapped_histogram_configINS_14default_configElLj1ELj1EEELj1EyEEvNS0_11fixed_arrayIPT1_XT0_EEENS5_IjXT0_EEE
	.p2align	8
	.type	_ZN7rocprim6detail21init_histogram_kernelINS0_24wrapped_histogram_configINS_14default_configElLj1ELj1EEELj1EyEEvNS0_11fixed_arrayIPT1_XT0_EEENS5_IjXT0_EEE,@function
_ZN7rocprim6detail21init_histogram_kernelINS0_24wrapped_histogram_configINS_14default_configElLj1ELj1EEELj1EyEEvNS0_11fixed_arrayIPT1_XT0_EEENS5_IjXT0_EEE: ; @_ZN7rocprim6detail21init_histogram_kernelINS0_24wrapped_histogram_configINS_14default_configElLj1ELj1EEELj1EyEEvNS0_11fixed_arrayIPT1_XT0_EEENS5_IjXT0_EEE
; %bb.0:
	s_load_b32 s2, s[0:1], 0x8
	s_bfe_u32 s3, ttmp6, 0x4000c
	s_and_b32 s4, ttmp6, 15
	s_add_co_i32 s3, s3, 1
	s_getreg_b32 s5, hwreg(HW_REG_IB_STS2, 6, 4)
	s_mul_i32 s3, ttmp9, s3
	s_delay_alu instid0(SALU_CYCLE_1) | instskip(SKIP_2) | instid1(SALU_CYCLE_1)
	s_add_co_i32 s4, s4, s3
	s_cmp_eq_u32 s5, 0
	s_cselect_b32 s3, ttmp9, s4
	v_lshl_or_b32 v0, s3, 8, v0
	s_wait_kmcnt 0x0
	s_delay_alu instid0(VALU_DEP_1)
	v_cmp_gt_u32_e32 vcc_lo, s2, v0
	s_and_saveexec_b32 s2, vcc_lo
	s_cbranch_execz .LBB0_2
; %bb.1:
	s_load_b64 s[0:1], s[0:1], 0x0
	v_mov_b64_e32 v[2:3], 0
	s_wait_kmcnt 0x0
	global_store_b64 v0, v[2:3], s[0:1] scale_offset
.LBB0_2:
	s_endpgm
	.section	.rodata,"a",@progbits
	.p2align	6, 0x0
	.amdhsa_kernel _ZN7rocprim6detail21init_histogram_kernelINS0_24wrapped_histogram_configINS_14default_configElLj1ELj1EEELj1EyEEvNS0_11fixed_arrayIPT1_XT0_EEENS5_IjXT0_EEE
		.amdhsa_group_segment_fixed_size 0
		.amdhsa_private_segment_fixed_size 0
		.amdhsa_kernarg_size 12
		.amdhsa_user_sgpr_count 2
		.amdhsa_user_sgpr_dispatch_ptr 0
		.amdhsa_user_sgpr_queue_ptr 0
		.amdhsa_user_sgpr_kernarg_segment_ptr 1
		.amdhsa_user_sgpr_dispatch_id 0
		.amdhsa_user_sgpr_kernarg_preload_length 0
		.amdhsa_user_sgpr_kernarg_preload_offset 0
		.amdhsa_user_sgpr_private_segment_size 0
		.amdhsa_wavefront_size32 1
		.amdhsa_uses_dynamic_stack 0
		.amdhsa_enable_private_segment 0
		.amdhsa_system_sgpr_workgroup_id_x 1
		.amdhsa_system_sgpr_workgroup_id_y 0
		.amdhsa_system_sgpr_workgroup_id_z 0
		.amdhsa_system_sgpr_workgroup_info 0
		.amdhsa_system_vgpr_workitem_id 0
		.amdhsa_next_free_vgpr 4
		.amdhsa_next_free_sgpr 6
		.amdhsa_named_barrier_count 0
		.amdhsa_reserve_vcc 1
		.amdhsa_float_round_mode_32 0
		.amdhsa_float_round_mode_16_64 0
		.amdhsa_float_denorm_mode_32 3
		.amdhsa_float_denorm_mode_16_64 3
		.amdhsa_fp16_overflow 0
		.amdhsa_memory_ordered 1
		.amdhsa_forward_progress 1
		.amdhsa_inst_pref_size 1
		.amdhsa_round_robin_scheduling 0
		.amdhsa_exception_fp_ieee_invalid_op 0
		.amdhsa_exception_fp_denorm_src 0
		.amdhsa_exception_fp_ieee_div_zero 0
		.amdhsa_exception_fp_ieee_overflow 0
		.amdhsa_exception_fp_ieee_underflow 0
		.amdhsa_exception_fp_ieee_inexact 0
		.amdhsa_exception_int_div_zero 0
	.end_amdhsa_kernel
	.section	.text._ZN7rocprim6detail21init_histogram_kernelINS0_24wrapped_histogram_configINS_14default_configElLj1ELj1EEELj1EyEEvNS0_11fixed_arrayIPT1_XT0_EEENS5_IjXT0_EEE,"axG",@progbits,_ZN7rocprim6detail21init_histogram_kernelINS0_24wrapped_histogram_configINS_14default_configElLj1ELj1EEELj1EyEEvNS0_11fixed_arrayIPT1_XT0_EEENS5_IjXT0_EEE,comdat
.Lfunc_end0:
	.size	_ZN7rocprim6detail21init_histogram_kernelINS0_24wrapped_histogram_configINS_14default_configElLj1ELj1EEELj1EyEEvNS0_11fixed_arrayIPT1_XT0_EEENS5_IjXT0_EEE, .Lfunc_end0-_ZN7rocprim6detail21init_histogram_kernelINS0_24wrapped_histogram_configINS_14default_configElLj1ELj1EEELj1EyEEvNS0_11fixed_arrayIPT1_XT0_EEENS5_IjXT0_EEE
                                        ; -- End function
	.set _ZN7rocprim6detail21init_histogram_kernelINS0_24wrapped_histogram_configINS_14default_configElLj1ELj1EEELj1EyEEvNS0_11fixed_arrayIPT1_XT0_EEENS5_IjXT0_EEE.num_vgpr, 4
	.set _ZN7rocprim6detail21init_histogram_kernelINS0_24wrapped_histogram_configINS_14default_configElLj1ELj1EEELj1EyEEvNS0_11fixed_arrayIPT1_XT0_EEENS5_IjXT0_EEE.num_agpr, 0
	.set _ZN7rocprim6detail21init_histogram_kernelINS0_24wrapped_histogram_configINS_14default_configElLj1ELj1EEELj1EyEEvNS0_11fixed_arrayIPT1_XT0_EEENS5_IjXT0_EEE.numbered_sgpr, 6
	.set _ZN7rocprim6detail21init_histogram_kernelINS0_24wrapped_histogram_configINS_14default_configElLj1ELj1EEELj1EyEEvNS0_11fixed_arrayIPT1_XT0_EEENS5_IjXT0_EEE.num_named_barrier, 0
	.set _ZN7rocprim6detail21init_histogram_kernelINS0_24wrapped_histogram_configINS_14default_configElLj1ELj1EEELj1EyEEvNS0_11fixed_arrayIPT1_XT0_EEENS5_IjXT0_EEE.private_seg_size, 0
	.set _ZN7rocprim6detail21init_histogram_kernelINS0_24wrapped_histogram_configINS_14default_configElLj1ELj1EEELj1EyEEvNS0_11fixed_arrayIPT1_XT0_EEENS5_IjXT0_EEE.uses_vcc, 1
	.set _ZN7rocprim6detail21init_histogram_kernelINS0_24wrapped_histogram_configINS_14default_configElLj1ELj1EEELj1EyEEvNS0_11fixed_arrayIPT1_XT0_EEENS5_IjXT0_EEE.uses_flat_scratch, 0
	.set _ZN7rocprim6detail21init_histogram_kernelINS0_24wrapped_histogram_configINS_14default_configElLj1ELj1EEELj1EyEEvNS0_11fixed_arrayIPT1_XT0_EEENS5_IjXT0_EEE.has_dyn_sized_stack, 0
	.set _ZN7rocprim6detail21init_histogram_kernelINS0_24wrapped_histogram_configINS_14default_configElLj1ELj1EEELj1EyEEvNS0_11fixed_arrayIPT1_XT0_EEENS5_IjXT0_EEE.has_recursion, 0
	.set _ZN7rocprim6detail21init_histogram_kernelINS0_24wrapped_histogram_configINS_14default_configElLj1ELj1EEELj1EyEEvNS0_11fixed_arrayIPT1_XT0_EEENS5_IjXT0_EEE.has_indirect_call, 0
	.section	.AMDGPU.csdata,"",@progbits
; Kernel info:
; codeLenInByte = 108
; TotalNumSgprs: 8
; NumVgprs: 4
; ScratchSize: 0
; MemoryBound: 0
; FloatMode: 240
; IeeeMode: 1
; LDSByteSize: 0 bytes/workgroup (compile time only)
; SGPRBlocks: 0
; VGPRBlocks: 0
; NumSGPRsForWavesPerEU: 8
; NumVGPRsForWavesPerEU: 4
; NamedBarCnt: 0
; Occupancy: 16
; WaveLimiterHint : 0
; COMPUTE_PGM_RSRC2:SCRATCH_EN: 0
; COMPUTE_PGM_RSRC2:USER_SGPR: 2
; COMPUTE_PGM_RSRC2:TRAP_HANDLER: 0
; COMPUTE_PGM_RSRC2:TGID_X_EN: 1
; COMPUTE_PGM_RSRC2:TGID_Y_EN: 0
; COMPUTE_PGM_RSRC2:TGID_Z_EN: 0
; COMPUTE_PGM_RSRC2:TIDIG_COMP_CNT: 0
	.section	.text._ZN7rocprim6detail23histogram_shared_kernelINS0_24wrapped_histogram_configINS_14default_configElLj1ELj1EEELj1ELj1EPlyNS0_18sample_to_bin_evenIlvEEEEvT2_jjjjjNS0_11fixed_arrayIPT3_XT1_EEENS9_IT4_XT1_EEENS9_IjXT1_EEE,"axG",@progbits,_ZN7rocprim6detail23histogram_shared_kernelINS0_24wrapped_histogram_configINS_14default_configElLj1ELj1EEELj1ELj1EPlyNS0_18sample_to_bin_evenIlvEEEEvT2_jjjjjNS0_11fixed_arrayIPT3_XT1_EEENS9_IT4_XT1_EEENS9_IjXT1_EEE,comdat
	.protected	_ZN7rocprim6detail23histogram_shared_kernelINS0_24wrapped_histogram_configINS_14default_configElLj1ELj1EEELj1ELj1EPlyNS0_18sample_to_bin_evenIlvEEEEvT2_jjjjjNS0_11fixed_arrayIPT3_XT1_EEENS9_IT4_XT1_EEENS9_IjXT1_EEE ; -- Begin function _ZN7rocprim6detail23histogram_shared_kernelINS0_24wrapped_histogram_configINS_14default_configElLj1ELj1EEELj1ELj1EPlyNS0_18sample_to_bin_evenIlvEEEEvT2_jjjjjNS0_11fixed_arrayIPT3_XT1_EEENS9_IT4_XT1_EEENS9_IjXT1_EEE
	.globl	_ZN7rocprim6detail23histogram_shared_kernelINS0_24wrapped_histogram_configINS_14default_configElLj1ELj1EEELj1ELj1EPlyNS0_18sample_to_bin_evenIlvEEEEvT2_jjjjjNS0_11fixed_arrayIPT3_XT1_EEENS9_IT4_XT1_EEENS9_IjXT1_EEE
	.p2align	8
	.type	_ZN7rocprim6detail23histogram_shared_kernelINS0_24wrapped_histogram_configINS_14default_configElLj1ELj1EEELj1ELj1EPlyNS0_18sample_to_bin_evenIlvEEEEvT2_jjjjjNS0_11fixed_arrayIPT3_XT1_EEENS9_IT4_XT1_EEENS9_IjXT1_EEE,@function
_ZN7rocprim6detail23histogram_shared_kernelINS0_24wrapped_histogram_configINS_14default_configElLj1ELj1EEELj1ELj1EPlyNS0_18sample_to_bin_evenIlvEEEEvT2_jjjjjNS0_11fixed_arrayIPT3_XT1_EEENS9_IT4_XT1_EEENS9_IjXT1_EEE: ; @_ZN7rocprim6detail23histogram_shared_kernelINS0_24wrapped_histogram_configINS_14default_configElLj1ELj1EEELj1ELj1EPlyNS0_18sample_to_bin_evenIlvEEEEvT2_jjjjjNS0_11fixed_arrayIPT3_XT1_EEENS9_IT4_XT1_EEENS9_IjXT1_EEE
; %bb.0:
	s_clause 0x4
	s_load_b32 s19, s[0:1], 0x18
	s_load_b96 s[16:18], s[0:1], 0x40
	s_load_b128 s[8:11], s[0:1], 0x8
	s_load_b128 s[12:15], s[0:1], 0x30
	s_load_b32 s4, s[0:1], 0x50
	v_lshl_add_u32 v13, v0, 2, 0
	s_wait_kmcnt 0x0
	s_cvt_f32_u32 s2, s19
	s_sub_co_i32 s3, 0, s19
	s_mul_i32 s5, s18, s19
	s_delay_alu instid0(SALU_CYCLE_1) | instskip(SKIP_1) | instid1(TRANS32_DEP_1)
	v_rcp_iflag_f32_e32 v1, s2
	v_nop
	v_readfirstlane_b32 s2, v1
	v_mov_b32_e32 v1, 0
	s_mul_f32 s2, s2, 0x4f7ffffe
	s_delay_alu instid0(SALU_CYCLE_3) | instskip(NEXT) | instid1(SALU_CYCLE_3)
	s_cvt_u32_f32 s2, s2
	s_mul_i32 s3, s3, s2
	s_delay_alu instid0(SALU_CYCLE_1)
	s_mul_hi_u32 s6, s2, s3
	s_mov_b32 s3, 0
	s_add_co_i32 s2, s2, s6
	s_mov_b32 s6, exec_lo
	v_cmpx_gt_u32_e64 s5, v0
	s_cbranch_execz .LBB1_3
; %bb.1:
	v_lshl_add_u32 v2, v0, 2, 0
	v_mov_b32_e32 v3, v0
	s_mov_b32 s7, s3
.LBB1_2:                                ; =>This Inner Loop Header: Depth=1
	s_delay_alu instid0(VALU_DEP_1) | instskip(SKIP_4) | instid1(SALU_CYCLE_1)
	v_add_nc_u32_e32 v3, 0x100, v3
	ds_store_b32 v2, v1
	v_add_nc_u32_e32 v2, 0x400, v2
	v_cmp_le_u32_e32 vcc_lo, s5, v3
	s_or_b32 s7, vcc_lo, s7
	s_and_not1_b32 exec_lo, exec_lo, s7
	s_cbranch_execnz .LBB1_2
.LBB1_3:
	s_or_b32 exec_lo, exec_lo, s6
	v_mul_u64_e32 v[2:3], s[2:3], v[0:1]
	s_bfe_u32 s2, ttmp6, 0x40010
	s_bfe_u32 s5, ttmp6, 0x40004
	s_add_co_i32 s2, s2, 1
	s_mov_b32 s7, 0
	s_mul_i32 s3, ttmp7, s2
	s_getreg_b32 s2, hwreg(HW_REG_IB_STS2, 6, 4)
	s_add_co_i32 s5, s5, s3
	s_cmp_eq_u32 s2, 0
	s_wait_dscnt 0x0
	s_cselect_b32 s3, ttmp7, s5
	s_barrier_signal -1
	s_mul_i32 s28, s11, s3
	s_barrier_wait -1
	s_add_co_i32 s3, s28, s11
	s_delay_alu instid0(SALU_CYCLE_1) | instskip(NEXT) | instid1(SALU_CYCLE_1)
	s_min_u32 s9, s9, s3
	s_cmp_ge_u32 s28, s9
	s_cbranch_scc1 .LBB1_91
; %bb.4:
	s_delay_alu instid0(VALU_DEP_1)
	v_mul_lo_u32 v1, v3, s19
	s_load_b64 s[20:21], s[0:1], 0x0
	s_bfe_u32 s5, ttmp6, 0x4000c
	s_and_b32 s3, ttmp6, 15
	s_add_co_i32 s5, s5, 1
	s_mov_b64 s[22:23], 0xffffffff
	s_mul_i32 s5, ttmp9, s5
                                        ; implicit-def: $vgpr22
                                        ; implicit-def: $vgpr30
	v_lshlrev_b32_e32 v12, 2, v0
	s_add_co_i32 s3, s3, s5
	s_cmp_eq_u32 s2, 0
	s_delay_alu instid0(VALU_DEP_2) | instskip(SKIP_3) | instid1(VALU_DEP_2)
	v_sub_nc_u32_e32 v1, v0, v1
	s_cselect_b32 s2, ttmp9, s3
	v_dual_lshlrev_b32 v16, 3, v12 :: v_dual_bitop2_b32 v27, 2, v12 bitop3:0x54
	s_lshl_b32 s11, s2, 10
	v_subrev_nc_u32_e32 v2, s19, v1
	v_cmp_le_u32_e32 vcc_lo, s19, v1
	v_or_b32_e32 v28, 3, v12
	s_cmp_gt_u32 s8, s11
	v_or_b32_e32 v26, 1, v12
	s_cselect_b32 s29, -1, 0
	v_dual_cndmask_b32 v1, v1, v2 :: v_dual_mov_b32 v2, 0
	s_lshl_b32 s30, s4, 10
	s_sub_co_i32 s31, s8, s11
	s_ashr_i32 s24, s17, 31
	s_delay_alu instid0(VALU_DEP_1) | instskip(SKIP_3) | instid1(VALU_DEP_3)
	v_subrev_nc_u32_e32 v3, s19, v1
	v_cmp_le_u32_e32 vcc_lo, s19, v1
	v_lshlrev_b32_e32 v14, 3, v0
	s_sub_co_i32 s33, 0, s16
	v_cndmask_b32_e32 v1, v1, v3, vcc_lo
	s_delay_alu instid0(VALU_DEP_1) | instskip(SKIP_1) | instid1(VALU_DEP_2)
	v_mul_lo_u32 v3, v1, s18
	v_mov_b32_e32 v1, 1
	v_lshl_add_u32 v29, v3, 2, 0
	s_branch .LBB1_6
.LBB1_5:                                ;   in Loop: Header=BB1_6 Depth=1
	s_add_co_i32 s28, s28, 1
	s_delay_alu instid0(SALU_CYCLE_1)
	s_cmp_ge_u32 s28, s9
	s_cbranch_scc1 .LBB1_91
.LBB1_6:                                ; =>This Loop Header: Depth=1
                                        ;     Child Loop BB1_9 Depth 2
	s_and_not1_b32 vcc_lo, exec_lo, s29
	s_cbranch_vccnz .LBB1_5
; %bb.7:                                ;   in Loop: Header=BB1_6 Depth=1
	s_mul_i32 s6, s28, s10
	v_dual_mov_b32 v15, v2 :: v_dual_mov_b32 v17, v2
	s_lshl_b64 s[2:3], s[6:7], 3
	s_mov_b32 s34, s31
	s_wait_kmcnt 0x0
	s_add_nc_u64 s[2:3], s[20:21], s[2:3]
	s_mov_b32 s6, s11
	v_add_nc_u64_e32 v[18:19], s[2:3], v[14:15]
	v_add_nc_u64_e32 v[20:21], s[2:3], v[16:17]
	s_branch .LBB1_9
.LBB1_8:                                ;   in Loop: Header=BB1_9 Depth=2
	s_or_b32 exec_lo, exec_lo, s2
	s_add_co_i32 s6, s6, s30
	s_sub_co_i32 s34, s34, s30
	s_cmp_lt_u32 s6, s8
	s_cbranch_scc0 .LBB1_5
.LBB1_9:                                ;   Parent Loop BB1_6 Depth=1
                                        ; =>  This Inner Loop Header: Depth=2
	s_add_co_i32 s2, s6, 0x400
	s_delay_alu instid0(SALU_CYCLE_1)
	s_cmp_gt_u32 s2, s8
	s_cbranch_scc1 .LBB1_42
; %bb.10:                               ;   in Loop: Header=BB1_9 Depth=2
	s_delay_alu instid0(VALU_DEP_2)
	v_lshl_add_u64 v[10:11], s[6:7], 3, v[18:19]
	s_clause 0x3
	global_load_b64 v[24:25], v[10:11], off
	global_load_b64 v[8:9], v[10:11], off offset:2048
	global_load_b64 v[6:7], v[10:11], off offset:4096
	;; [unrolled: 1-line block ×3, first 2 shown]
	s_wait_xcnt 0x0
	v_mov_b32_e32 v10, v30
	s_wait_loadcnt 0x3
	v_cmp_le_i64_e32 vcc_lo, s[12:13], v[24:25]
	v_cmp_gt_i64_e64 s2, s[14:15], v[24:25]
	s_and_b32 s3, vcc_lo, s2
	s_delay_alu instid0(SALU_CYCLE_1)
	s_and_saveexec_b32 s26, s3
	s_cbranch_execz .LBB1_16
; %bb.11:                               ;   in Loop: Header=BB1_9 Depth=2
	v_sub_nc_u64_e64 v[24:25], v[24:25], s[12:13]
                                        ; implicit-def: $vgpr10_vgpr11
	s_mov_b32 s2, exec_lo
	s_delay_alu instid0(VALU_DEP_1) | instskip(NEXT) | instid1(VALU_DEP_1)
	v_or_b32_e32 v3, s17, v25
	v_cmpx_ne_u64_e32 0, v[2:3]
	s_xor_b32 s27, exec_lo, s2
	s_cbranch_execz .LBB1_13
; %bb.12:                               ;   in Loop: Header=BB1_9 Depth=2
	s_mov_b32 s25, s24
	s_mov_b32 s41, s7
	s_add_nc_u64 s[4:5], s[16:17], s[24:25]
	s_mov_b32 s45, s7
	s_xor_b64 s[4:5], s[4:5], s[24:25]
	v_dual_mov_b32 v33, v2 :: v_dual_ashrrev_i32 v10, 31, v25
	s_cvt_f32_u32 s2, s4
	s_cvt_f32_u32 s25, s5
	s_sub_nc_u64 s[38:39], 0, s[4:5]
	s_delay_alu instid0(VALU_DEP_1) | instskip(NEXT) | instid1(SALU_CYCLE_1)
	v_mov_b32_e32 v11, v10
	s_fmamk_f32 s2, s25, 0x4f800000, s2
	s_delay_alu instid0(VALU_DEP_1) | instskip(NEXT) | instid1(SALU_CYCLE_2)
	v_add_nc_u64_e32 v[24:25], v[24:25], v[10:11]
	v_s_rcp_f32 s2, s2
	s_delay_alu instid0(VALU_DEP_1) | instskip(NEXT) | instid1(VALU_DEP_2)
	v_dual_mov_b32 v37, v2 :: v_dual_bitop2_b32 v36, v25, v10 bitop3:0x14
	v_xor_b32_e32 v32, v24, v10
	s_delay_alu instid0(TRANS32_DEP_1) | instskip(SKIP_1) | instid1(SALU_CYCLE_2)
	s_mul_f32 s2, s2, 0x5f7ffffc
	v_dual_mov_b32 v41, v2 :: v_dual_bitop2_b32 v10, s24, v10 bitop3:0x14
	s_mul_f32 s25, s2, 0x2f800000
	s_delay_alu instid0(SALU_CYCLE_3) | instskip(NEXT) | instid1(SALU_CYCLE_3)
	s_trunc_f32 s25, s25
	s_fmamk_f32 s2, s25, 0xcf800000, s2
	s_cvt_u32_f32 s37, s25
	s_delay_alu instid0(SALU_CYCLE_2) | instskip(NEXT) | instid1(SALU_CYCLE_3)
	s_cvt_u32_f32 s36, s2
	s_mul_u64 s[42:43], s[38:39], s[36:37]
	s_delay_alu instid0(SALU_CYCLE_1)
	s_mul_hi_u32 s47, s36, s43
	s_mul_i32 s46, s36, s43
	s_mul_hi_u32 s40, s36, s42
	s_mul_i32 s25, s37, s42
	s_add_nc_u64 s[40:41], s[40:41], s[46:47]
	s_mul_hi_u32 s2, s37, s42
	s_mul_hi_u32 s35, s37, s43
	s_add_co_u32 s25, s40, s25
	s_add_co_ci_u32 s44, s41, s2
	s_mul_i32 s42, s37, s43
	s_add_co_ci_u32 s43, s35, 0
	s_delay_alu instid0(SALU_CYCLE_1) | instskip(SKIP_3) | instid1(SALU_CYCLE_1)
	s_add_nc_u64 s[40:41], s[44:45], s[42:43]
	s_mov_b32 s43, s7
	s_add_co_u32 s36, s36, s40
	s_cselect_b32 s2, -1, 0
	s_cmp_lg_u32 s2, 0
	s_add_co_ci_u32 s37, s37, s41
	s_mov_b32 s41, s7
	s_mul_u64 s[38:39], s[38:39], s[36:37]
	s_delay_alu instid0(SALU_CYCLE_1)
	s_mul_hi_u32 s45, s36, s39
	s_mul_i32 s44, s36, s39
	s_mul_hi_u32 s42, s36, s38
	s_mul_i32 s25, s37, s38
	s_add_nc_u64 s[42:43], s[42:43], s[44:45]
	s_mul_hi_u32 s2, s37, s38
	s_mul_hi_u32 s35, s37, s39
	s_add_co_u32 s25, s42, s25
	s_add_co_ci_u32 s40, s43, s2
	s_mul_i32 s38, s37, s39
	s_add_co_ci_u32 s39, s35, 0
	s_delay_alu instid0(SALU_CYCLE_1) | instskip(NEXT) | instid1(SALU_CYCLE_1)
	s_add_nc_u64 s[38:39], s[40:41], s[38:39]
	s_add_co_u32 s2, s36, s38
	s_cselect_b32 s25, -1, 0
	v_mul_hi_u32 v40, v32, s2
	s_cmp_lg_u32 s25, 0
	s_add_co_ci_u32 s40, s37, s39
	s_and_b64 s[36:37], s[2:3], s[22:23]
	v_mul_u64_e32 v[34:35], s[40:41], v[32:33]
	v_mul_u64_e32 v[24:25], s[36:37], v[36:37]
	;; [unrolled: 1-line block ×3, first 2 shown]
	s_delay_alu instid0(VALU_DEP_3) | instskip(NEXT) | instid1(VALU_DEP_1)
	v_add_nc_u64_e32 v[34:35], v[40:41], v[34:35]
	v_add_co_u32 v3, vcc_lo, v34, v24
	s_delay_alu instid0(VALU_DEP_2) | instskip(NEXT) | instid1(VALU_DEP_4)
	v_add_co_ci_u32_e32 v40, vcc_lo, v35, v25, vcc_lo
	v_add_co_ci_u32_e32 v39, vcc_lo, 0, v39, vcc_lo
	s_delay_alu instid0(VALU_DEP_1) | instskip(NEXT) | instid1(VALU_DEP_1)
	v_add_nc_u64_e32 v[24:25], v[40:41], v[38:39]
	v_mul_u64_e32 v[34:35], s[4:5], v[24:25]
	s_delay_alu instid0(VALU_DEP_1) | instskip(NEXT) | instid1(VALU_DEP_2)
	v_sub_nc_u32_e32 v3, v36, v35
	v_sub_co_u32 v11, vcc_lo, v32, v34
	s_delay_alu instid0(VALU_DEP_1) | instskip(NEXT) | instid1(VALU_DEP_3)
	v_sub_co_ci_u32_e64 v17, null, v36, v35, vcc_lo
	v_subrev_co_ci_u32_e64 v3, null, s5, v3, vcc_lo
	s_delay_alu instid0(VALU_DEP_3) | instskip(SKIP_1) | instid1(VALU_DEP_3)
	v_sub_co_u32 v15, s2, v11, s4
	v_add_nc_u64_e32 v[32:33], 2, v[24:25]
	v_subrev_co_ci_u32_e64 v3, null, 0, v3, s2
	s_delay_alu instid0(VALU_DEP_3) | instskip(SKIP_2) | instid1(VALU_DEP_4)
	v_cmp_le_u32_e32 vcc_lo, s4, v15
	v_add_nc_u64_e32 v[34:35], 1, v[24:25]
	v_cndmask_b32_e64 v15, 0, -1, vcc_lo
	v_cmp_le_u32_e32 vcc_lo, s5, v3
	v_cndmask_b32_e64 v23, 0, -1, vcc_lo
	v_cmp_le_u32_e32 vcc_lo, s4, v11
	;; [unrolled: 2-line block ×3, first 2 shown]
	v_cndmask_b32_e64 v31, 0, -1, vcc_lo
	v_cmp_eq_u32_e32 vcc_lo, s5, v3
	v_cndmask_b32_e32 v3, v23, v15, vcc_lo
	v_cmp_eq_u32_e32 vcc_lo, s5, v17
	s_delay_alu instid0(VALU_DEP_4) | instskip(NEXT) | instid1(VALU_DEP_3)
	v_cndmask_b32_e32 v11, v31, v11, vcc_lo
	v_cmp_ne_u32_e32 vcc_lo, 0, v3
	s_delay_alu instid0(VALU_DEP_2) | instskip(SKIP_1) | instid1(VALU_DEP_1)
	v_cmp_ne_u32_e64 s2, 0, v11
	v_dual_cndmask_b32 v11, v34, v32, vcc_lo :: v_dual_cndmask_b32 v3, v35, v33, vcc_lo
	v_cndmask_b32_e64 v15, v24, v11, s2
	s_delay_alu instid0(VALU_DEP_2) | instskip(NEXT) | instid1(VALU_DEP_2)
	v_dual_cndmask_b32 v3, v25, v3, s2 :: v_dual_mov_b32 v11, v10
	v_xor_b32_e32 v24, v15, v10
	s_delay_alu instid0(VALU_DEP_2) | instskip(NEXT) | instid1(VALU_DEP_1)
	v_xor_b32_e32 v25, v3, v10
	v_sub_nc_u64_e32 v[10:11], v[24:25], v[10:11]
                                        ; implicit-def: $vgpr24_vgpr25
.LBB1_13:                               ;   in Loop: Header=BB1_9 Depth=2
	s_and_not1_saveexec_b32 s2, s27
	s_cbranch_execz .LBB1_15
; %bb.14:                               ;   in Loop: Header=BB1_9 Depth=2
	v_cvt_f32_u32_e32 v3, s16
	s_delay_alu instid0(VALU_DEP_1) | instskip(SKIP_1) | instid1(TRANS32_DEP_1)
	v_rcp_iflag_f32_e32 v3, v3
	v_nop
	v_mul_f32_e32 v3, 0x4f7ffffe, v3
	s_delay_alu instid0(VALU_DEP_1) | instskip(NEXT) | instid1(VALU_DEP_1)
	v_cvt_u32_f32_e32 v3, v3
	v_mul_lo_u32 v10, s33, v3
	s_delay_alu instid0(VALU_DEP_1) | instskip(NEXT) | instid1(VALU_DEP_1)
	v_mul_hi_u32 v10, v3, v10
	v_add_nc_u32_e32 v3, v3, v10
	s_delay_alu instid0(VALU_DEP_1) | instskip(NEXT) | instid1(VALU_DEP_1)
	v_mul_hi_u32 v3, v24, v3
	v_mul_lo_u32 v10, v3, s16
	s_delay_alu instid0(VALU_DEP_1) | instskip(NEXT) | instid1(VALU_DEP_1)
	v_dual_add_nc_u32 v11, 1, v3 :: v_dual_sub_nc_u32 v10, v24, v10
	v_subrev_nc_u32_e32 v15, s16, v10
	v_cmp_le_u32_e32 vcc_lo, s16, v10
	s_delay_alu instid0(VALU_DEP_2) | instskip(NEXT) | instid1(VALU_DEP_4)
	v_cndmask_b32_e32 v10, v10, v15, vcc_lo
	v_cndmask_b32_e32 v3, v3, v11, vcc_lo
	s_delay_alu instid0(VALU_DEP_2) | instskip(NEXT) | instid1(VALU_DEP_2)
	v_cmp_le_u32_e32 vcc_lo, s16, v10
	v_add_nc_u32_e32 v11, 1, v3
	s_delay_alu instid0(VALU_DEP_1)
	v_cndmask_b32_e32 v10, v3, v11, vcc_lo
.LBB1_15:                               ;   in Loop: Header=BB1_9 Depth=2
	s_or_b32 exec_lo, exec_lo, s2
.LBB1_16:                               ;   in Loop: Header=BB1_9 Depth=2
	s_delay_alu instid0(SALU_CYCLE_1)
	s_or_b32 exec_lo, exec_lo, s26
	s_and_saveexec_b32 s2, s3
; %bb.17:                               ;   in Loop: Header=BB1_9 Depth=2
	s_delay_alu instid0(VALU_DEP_1)
	v_lshl_add_u32 v3, v10, 2, v29
	ds_add_u32 v3, v1
; %bb.18:                               ;   in Loop: Header=BB1_9 Depth=2
	s_or_b32 exec_lo, exec_lo, s2
	s_wait_loadcnt 0x2
	v_cmp_le_i64_e32 vcc_lo, s[12:13], v[8:9]
	v_cmp_gt_i64_e64 s2, s[14:15], v[8:9]
	s_and_b32 s3, vcc_lo, s2
	s_delay_alu instid0(SALU_CYCLE_1)
	s_and_saveexec_b32 s26, s3
	s_cbranch_execz .LBB1_24
; %bb.19:                               ;   in Loop: Header=BB1_9 Depth=2
	v_sub_nc_u64_e64 v[8:9], v[8:9], s[12:13]
                                        ; implicit-def: $vgpr10_vgpr11
	s_mov_b32 s2, exec_lo
	s_delay_alu instid0(VALU_DEP_1) | instskip(NEXT) | instid1(VALU_DEP_1)
	v_or_b32_e32 v3, s17, v9
	v_cmpx_ne_u64_e32 0, v[2:3]
	s_xor_b32 s27, exec_lo, s2
	s_cbranch_execz .LBB1_21
; %bb.20:                               ;   in Loop: Header=BB1_9 Depth=2
	s_mov_b32 s25, s24
	s_mov_b32 s41, s7
	s_add_nc_u64 s[4:5], s[16:17], s[24:25]
	s_mov_b32 s45, s7
	s_xor_b64 s[4:5], s[4:5], s[24:25]
	v_dual_mov_b32 v25, v2 :: v_dual_ashrrev_i32 v10, 31, v9
	s_cvt_f32_u32 s2, s4
	s_cvt_f32_u32 s25, s5
	s_sub_nc_u64 s[38:39], 0, s[4:5]
	s_delay_alu instid0(VALU_DEP_1) | instskip(NEXT) | instid1(SALU_CYCLE_1)
	v_dual_mov_b32 v11, v10 :: v_dual_mov_b32 v39, v2
	s_fmamk_f32 s2, s25, 0x4f800000, s2
	s_delay_alu instid0(VALU_DEP_1) | instskip(NEXT) | instid1(SALU_CYCLE_2)
	v_add_nc_u64_e32 v[8:9], v[8:9], v[10:11]
	v_s_rcp_f32 s2, s2
	s_delay_alu instid0(VALU_DEP_1) | instskip(NEXT) | instid1(VALU_DEP_2)
	v_dual_mov_b32 v35, v2 :: v_dual_bitop2_b32 v34, v9, v10 bitop3:0x14
	v_xor_b32_e32 v24, v8, v10
	s_delay_alu instid0(TRANS32_DEP_1) | instskip(NEXT) | instid1(SALU_CYCLE_3)
	s_mul_f32 s2, s2, 0x5f7ffffc
	s_mul_f32 s25, s2, 0x2f800000
	s_delay_alu instid0(SALU_CYCLE_3) | instskip(NEXT) | instid1(SALU_CYCLE_3)
	s_trunc_f32 s25, s25
	s_fmamk_f32 s2, s25, 0xcf800000, s2
	s_cvt_u32_f32 s37, s25
	s_delay_alu instid0(SALU_CYCLE_2) | instskip(NEXT) | instid1(SALU_CYCLE_3)
	s_cvt_u32_f32 s36, s2
	s_mul_u64 s[42:43], s[38:39], s[36:37]
	s_delay_alu instid0(SALU_CYCLE_1)
	s_mul_hi_u32 s47, s36, s43
	s_mul_i32 s46, s36, s43
	s_mul_hi_u32 s40, s36, s42
	s_mul_i32 s25, s37, s42
	s_add_nc_u64 s[40:41], s[40:41], s[46:47]
	s_mul_hi_u32 s2, s37, s42
	s_mul_hi_u32 s35, s37, s43
	s_add_co_u32 s25, s40, s25
	s_add_co_ci_u32 s44, s41, s2
	s_mul_i32 s42, s37, s43
	s_add_co_ci_u32 s43, s35, 0
	s_delay_alu instid0(SALU_CYCLE_1) | instskip(SKIP_3) | instid1(SALU_CYCLE_1)
	s_add_nc_u64 s[40:41], s[44:45], s[42:43]
	s_mov_b32 s43, s7
	s_add_co_u32 s36, s36, s40
	s_cselect_b32 s2, -1, 0
	s_cmp_lg_u32 s2, 0
	s_add_co_ci_u32 s37, s37, s41
	s_mov_b32 s41, s7
	s_mul_u64 s[38:39], s[38:39], s[36:37]
	s_delay_alu instid0(SALU_CYCLE_1)
	s_mul_hi_u32 s45, s36, s39
	s_mul_i32 s44, s36, s39
	s_mul_hi_u32 s42, s36, s38
	s_mul_i32 s25, s37, s38
	s_add_nc_u64 s[42:43], s[42:43], s[44:45]
	s_mul_hi_u32 s2, s37, s38
	s_mul_hi_u32 s35, s37, s39
	s_add_co_u32 s25, s42, s25
	s_add_co_ci_u32 s40, s43, s2
	s_mul_i32 s38, s37, s39
	s_add_co_ci_u32 s39, s35, 0
	s_delay_alu instid0(SALU_CYCLE_1) | instskip(NEXT) | instid1(SALU_CYCLE_1)
	s_add_nc_u64 s[38:39], s[40:41], s[38:39]
	s_add_co_u32 s2, s36, s38
	s_cselect_b32 s25, -1, 0
	v_mul_hi_u32 v38, v24, s2
	s_cmp_lg_u32 s25, 0
	s_add_co_ci_u32 s40, s37, s39
	s_and_b64 s[36:37], s[2:3], s[22:23]
	v_mul_u64_e32 v[32:33], s[40:41], v[24:25]
	v_mul_u64_e32 v[8:9], s[36:37], v[34:35]
	;; [unrolled: 1-line block ×3, first 2 shown]
	s_delay_alu instid0(VALU_DEP_3) | instskip(NEXT) | instid1(VALU_DEP_1)
	v_add_nc_u64_e32 v[32:33], v[38:39], v[32:33]
	v_add_co_u32 v3, vcc_lo, v32, v8
	s_delay_alu instid0(VALU_DEP_2) | instskip(NEXT) | instid1(VALU_DEP_4)
	v_add_co_ci_u32_e32 v38, vcc_lo, v33, v9, vcc_lo
	v_add_co_ci_u32_e32 v37, vcc_lo, 0, v37, vcc_lo
	s_delay_alu instid0(VALU_DEP_1) | instskip(NEXT) | instid1(VALU_DEP_1)
	v_add_nc_u64_e32 v[8:9], v[38:39], v[36:37]
	v_mul_u64_e32 v[32:33], s[4:5], v[8:9]
	s_delay_alu instid0(VALU_DEP_1) | instskip(NEXT) | instid1(VALU_DEP_2)
	v_sub_nc_u32_e32 v3, v34, v33
	v_sub_co_u32 v11, vcc_lo, v24, v32
	s_delay_alu instid0(VALU_DEP_1) | instskip(NEXT) | instid1(VALU_DEP_3)
	v_sub_co_ci_u32_e64 v17, null, v34, v33, vcc_lo
	v_subrev_co_ci_u32_e64 v3, null, s5, v3, vcc_lo
	s_delay_alu instid0(VALU_DEP_3) | instskip(SKIP_1) | instid1(VALU_DEP_3)
	v_sub_co_u32 v15, s2, v11, s4
	v_add_nc_u64_e32 v[24:25], 2, v[8:9]
	v_subrev_co_ci_u32_e64 v3, null, 0, v3, s2
	s_delay_alu instid0(VALU_DEP_3) | instskip(SKIP_2) | instid1(VALU_DEP_4)
	v_cmp_le_u32_e32 vcc_lo, s4, v15
	v_add_nc_u64_e32 v[32:33], 1, v[8:9]
	v_cndmask_b32_e64 v15, 0, -1, vcc_lo
	v_cmp_le_u32_e32 vcc_lo, s5, v3
	v_cndmask_b32_e64 v23, 0, -1, vcc_lo
	v_cmp_le_u32_e32 vcc_lo, s4, v11
	;; [unrolled: 2-line block ×3, first 2 shown]
	v_cndmask_b32_e64 v31, 0, -1, vcc_lo
	v_cmp_eq_u32_e32 vcc_lo, s5, v3
	v_cndmask_b32_e32 v3, v23, v15, vcc_lo
	v_cmp_eq_u32_e32 vcc_lo, s5, v17
	s_delay_alu instid0(VALU_DEP_4) | instskip(NEXT) | instid1(VALU_DEP_3)
	v_cndmask_b32_e32 v11, v31, v11, vcc_lo
	v_cmp_ne_u32_e32 vcc_lo, 0, v3
	s_delay_alu instid0(VALU_DEP_2) | instskip(SKIP_1) | instid1(VALU_DEP_1)
	v_cmp_ne_u32_e64 s2, 0, v11
	v_dual_cndmask_b32 v3, v33, v25, vcc_lo :: v_dual_cndmask_b32 v11, v32, v24, vcc_lo
	v_dual_cndmask_b32 v3, v9, v3, s2 :: v_dual_bitop2_b32 v10, s24, v10 bitop3:0x14
	s_delay_alu instid0(VALU_DEP_1) | instskip(NEXT) | instid1(VALU_DEP_2)
	v_dual_cndmask_b32 v8, v8, v11, s2 :: v_dual_mov_b32 v11, v10
	v_xor_b32_e32 v9, v3, v10
	s_delay_alu instid0(VALU_DEP_2) | instskip(NEXT) | instid1(VALU_DEP_1)
	v_xor_b32_e32 v8, v8, v10
	v_sub_nc_u64_e32 v[10:11], v[8:9], v[10:11]
                                        ; implicit-def: $vgpr8_vgpr9
.LBB1_21:                               ;   in Loop: Header=BB1_9 Depth=2
	s_and_not1_saveexec_b32 s2, s27
	s_cbranch_execz .LBB1_23
; %bb.22:                               ;   in Loop: Header=BB1_9 Depth=2
	v_cvt_f32_u32_e32 v3, s16
	s_delay_alu instid0(VALU_DEP_1) | instskip(SKIP_1) | instid1(TRANS32_DEP_1)
	v_rcp_iflag_f32_e32 v3, v3
	v_nop
	v_mul_f32_e32 v3, 0x4f7ffffe, v3
	s_delay_alu instid0(VALU_DEP_1) | instskip(NEXT) | instid1(VALU_DEP_1)
	v_cvt_u32_f32_e32 v3, v3
	v_mul_lo_u32 v9, s33, v3
	s_delay_alu instid0(VALU_DEP_1) | instskip(NEXT) | instid1(VALU_DEP_1)
	v_mul_hi_u32 v9, v3, v9
	v_add_nc_u32_e32 v3, v3, v9
	s_delay_alu instid0(VALU_DEP_1) | instskip(NEXT) | instid1(VALU_DEP_1)
	v_mul_hi_u32 v3, v8, v3
	v_mul_lo_u32 v9, v3, s16
	s_delay_alu instid0(VALU_DEP_1) | instskip(NEXT) | instid1(VALU_DEP_1)
	v_dual_sub_nc_u32 v8, v8, v9 :: v_dual_add_nc_u32 v9, 1, v3
	v_subrev_nc_u32_e32 v10, s16, v8
	v_cmp_le_u32_e32 vcc_lo, s16, v8
	s_delay_alu instid0(VALU_DEP_2) | instskip(NEXT) | instid1(VALU_DEP_1)
	v_dual_cndmask_b32 v8, v8, v10 :: v_dual_cndmask_b32 v3, v3, v9
	v_cmp_le_u32_e32 vcc_lo, s16, v8
	s_delay_alu instid0(VALU_DEP_2) | instskip(NEXT) | instid1(VALU_DEP_1)
	v_add_nc_u32_e32 v9, 1, v3
	v_cndmask_b32_e32 v10, v3, v9, vcc_lo
.LBB1_23:                               ;   in Loop: Header=BB1_9 Depth=2
	s_or_b32 exec_lo, exec_lo, s2
.LBB1_24:                               ;   in Loop: Header=BB1_9 Depth=2
	s_delay_alu instid0(SALU_CYCLE_1)
	s_or_b32 exec_lo, exec_lo, s26
	s_and_saveexec_b32 s2, s3
; %bb.25:                               ;   in Loop: Header=BB1_9 Depth=2
	s_delay_alu instid0(VALU_DEP_1)
	v_lshl_add_u32 v3, v10, 2, v29
	ds_add_u32 v3, v1
; %bb.26:                               ;   in Loop: Header=BB1_9 Depth=2
	s_or_b32 exec_lo, exec_lo, s2
	s_wait_loadcnt 0x1
	v_cmp_le_i64_e32 vcc_lo, s[12:13], v[6:7]
	v_cmp_gt_i64_e64 s2, s[14:15], v[6:7]
	s_and_b32 s3, vcc_lo, s2
	s_delay_alu instid0(SALU_CYCLE_1)
	s_and_saveexec_b32 s26, s3
	s_cbranch_execz .LBB1_32
; %bb.27:                               ;   in Loop: Header=BB1_9 Depth=2
	v_sub_nc_u64_e64 v[6:7], v[6:7], s[12:13]
                                        ; implicit-def: $vgpr10_vgpr11
	s_mov_b32 s2, exec_lo
	s_delay_alu instid0(VALU_DEP_1) | instskip(NEXT) | instid1(VALU_DEP_1)
	v_or_b32_e32 v3, s17, v7
	v_cmpx_ne_u64_e32 0, v[2:3]
	s_xor_b32 s27, exec_lo, s2
	s_cbranch_execz .LBB1_29
; %bb.28:                               ;   in Loop: Header=BB1_9 Depth=2
	s_mov_b32 s25, s24
	s_mov_b32 s41, s7
	s_add_nc_u64 s[4:5], s[16:17], s[24:25]
	s_mov_b32 s45, s7
	s_xor_b64 s[4:5], s[4:5], s[24:25]
	v_dual_mov_b32 v11, v2 :: v_dual_ashrrev_i32 v8, 31, v7
	s_cvt_f32_u32 s2, s4
	s_cvt_f32_u32 s25, s5
	s_sub_nc_u64 s[38:39], 0, s[4:5]
	s_delay_alu instid0(VALU_DEP_1) | instskip(NEXT) | instid1(SALU_CYCLE_1)
	v_mov_b32_e32 v9, v8
	s_fmamk_f32 s2, s25, 0x4f800000, s2
	s_delay_alu instid0(VALU_DEP_1) | instskip(NEXT) | instid1(SALU_CYCLE_2)
	v_add_nc_u64_e32 v[6:7], v[6:7], v[8:9]
	v_s_rcp_f32 s2, s2
	s_delay_alu instid0(VALU_DEP_1) | instskip(NEXT) | instid1(VALU_DEP_2)
	v_dual_mov_b32 v33, v2 :: v_dual_bitop2_b32 v32, v7, v8 bitop3:0x14
	v_xor_b32_e32 v10, v6, v8
	s_delay_alu instid0(TRANS32_DEP_1) | instskip(SKIP_1) | instid1(SALU_CYCLE_2)
	s_mul_f32 s2, s2, 0x5f7ffffc
	v_mov_b32_e32 v37, v2
	s_mul_f32 s25, s2, 0x2f800000
	s_delay_alu instid0(SALU_CYCLE_3) | instskip(NEXT) | instid1(SALU_CYCLE_3)
	s_trunc_f32 s25, s25
	s_fmamk_f32 s2, s25, 0xcf800000, s2
	s_cvt_u32_f32 s37, s25
	s_delay_alu instid0(SALU_CYCLE_2) | instskip(NEXT) | instid1(SALU_CYCLE_3)
	s_cvt_u32_f32 s36, s2
	s_mul_u64 s[42:43], s[38:39], s[36:37]
	s_delay_alu instid0(SALU_CYCLE_1)
	s_mul_hi_u32 s47, s36, s43
	s_mul_i32 s46, s36, s43
	s_mul_hi_u32 s40, s36, s42
	s_mul_i32 s25, s37, s42
	s_add_nc_u64 s[40:41], s[40:41], s[46:47]
	s_mul_hi_u32 s2, s37, s42
	s_mul_hi_u32 s35, s37, s43
	s_add_co_u32 s25, s40, s25
	s_add_co_ci_u32 s44, s41, s2
	s_mul_i32 s42, s37, s43
	s_add_co_ci_u32 s43, s35, 0
	s_delay_alu instid0(SALU_CYCLE_1) | instskip(SKIP_3) | instid1(SALU_CYCLE_1)
	s_add_nc_u64 s[40:41], s[44:45], s[42:43]
	s_mov_b32 s43, s7
	s_add_co_u32 s36, s36, s40
	s_cselect_b32 s2, -1, 0
	s_cmp_lg_u32 s2, 0
	s_add_co_ci_u32 s37, s37, s41
	s_mov_b32 s41, s7
	s_mul_u64 s[38:39], s[38:39], s[36:37]
	s_delay_alu instid0(SALU_CYCLE_1)
	s_mul_hi_u32 s45, s36, s39
	s_mul_i32 s44, s36, s39
	s_mul_hi_u32 s42, s36, s38
	s_mul_i32 s25, s37, s38
	s_add_nc_u64 s[42:43], s[42:43], s[44:45]
	s_mul_hi_u32 s2, s37, s38
	s_mul_hi_u32 s35, s37, s39
	s_add_co_u32 s25, s42, s25
	s_add_co_ci_u32 s40, s43, s2
	s_mul_i32 s38, s37, s39
	s_add_co_ci_u32 s39, s35, 0
	s_delay_alu instid0(SALU_CYCLE_1) | instskip(NEXT) | instid1(SALU_CYCLE_1)
	s_add_nc_u64 s[38:39], s[40:41], s[38:39]
	s_add_co_u32 s2, s36, s38
	s_cselect_b32 s25, -1, 0
	v_mul_hi_u32 v36, v10, s2
	s_cmp_lg_u32 s25, 0
	s_add_co_ci_u32 s40, s37, s39
	s_and_b64 s[36:37], s[2:3], s[22:23]
	v_mul_u64_e32 v[24:25], s[40:41], v[10:11]
	v_mul_u64_e32 v[6:7], s[36:37], v[32:33]
	;; [unrolled: 1-line block ×3, first 2 shown]
	s_delay_alu instid0(VALU_DEP_3) | instskip(NEXT) | instid1(VALU_DEP_1)
	v_add_nc_u64_e32 v[24:25], v[36:37], v[24:25]
	v_add_co_u32 v3, vcc_lo, v24, v6
	s_delay_alu instid0(VALU_DEP_2) | instskip(NEXT) | instid1(VALU_DEP_4)
	v_add_co_ci_u32_e32 v36, vcc_lo, v25, v7, vcc_lo
	v_add_co_ci_u32_e32 v35, vcc_lo, 0, v35, vcc_lo
	s_delay_alu instid0(VALU_DEP_1) | instskip(NEXT) | instid1(VALU_DEP_1)
	v_add_nc_u64_e32 v[6:7], v[36:37], v[34:35]
	v_mul_u64_e32 v[24:25], s[4:5], v[6:7]
	s_delay_alu instid0(VALU_DEP_1) | instskip(NEXT) | instid1(VALU_DEP_2)
	v_sub_nc_u32_e32 v3, v32, v25
	v_sub_co_u32 v9, vcc_lo, v10, v24
	s_delay_alu instid0(VALU_DEP_1) | instskip(NEXT) | instid1(VALU_DEP_3)
	v_sub_co_ci_u32_e64 v15, null, v32, v25, vcc_lo
	v_subrev_co_ci_u32_e64 v3, null, s5, v3, vcc_lo
	s_delay_alu instid0(VALU_DEP_3) | instskip(SKIP_1) | instid1(VALU_DEP_3)
	v_sub_co_u32 v10, s2, v9, s4
	v_add_nc_u64_e32 v[24:25], 1, v[6:7]
	v_subrev_co_ci_u32_e64 v3, null, 0, v3, s2
	s_delay_alu instid0(VALU_DEP_3) | instskip(SKIP_1) | instid1(VALU_DEP_3)
	v_cmp_le_u32_e32 vcc_lo, s4, v10
	v_cndmask_b32_e64 v10, 0, -1, vcc_lo
	v_cmp_le_u32_e32 vcc_lo, s5, v3
	v_cndmask_b32_e64 v11, 0, -1, vcc_lo
	;; [unrolled: 2-line block ×4, first 2 shown]
	v_cmp_eq_u32_e32 vcc_lo, s5, v3
	v_cndmask_b32_e32 v3, v11, v10, vcc_lo
	v_cmp_eq_u32_e32 vcc_lo, s5, v15
	v_add_nc_u64_e32 v[10:11], 2, v[6:7]
	v_cndmask_b32_e32 v9, v17, v9, vcc_lo
	s_delay_alu instid0(VALU_DEP_4) | instskip(NEXT) | instid1(VALU_DEP_2)
	v_cmp_ne_u32_e32 vcc_lo, 0, v3
	v_cmp_ne_u32_e64 s2, 0, v9
	s_delay_alu instid0(VALU_DEP_4) | instskip(NEXT) | instid1(VALU_DEP_1)
	v_dual_cndmask_b32 v3, v25, v11, vcc_lo :: v_dual_cndmask_b32 v9, v24, v10, vcc_lo
	v_dual_cndmask_b32 v3, v7, v3, s2 :: v_dual_bitop2_b32 v8, s24, v8 bitop3:0x14
	s_delay_alu instid0(VALU_DEP_1) | instskip(NEXT) | instid1(VALU_DEP_2)
	v_dual_cndmask_b32 v6, v6, v9, s2 :: v_dual_mov_b32 v9, v8
	v_xor_b32_e32 v7, v3, v8
	s_delay_alu instid0(VALU_DEP_2) | instskip(NEXT) | instid1(VALU_DEP_1)
	v_xor_b32_e32 v6, v6, v8
	v_sub_nc_u64_e32 v[10:11], v[6:7], v[8:9]
                                        ; implicit-def: $vgpr6_vgpr7
.LBB1_29:                               ;   in Loop: Header=BB1_9 Depth=2
	s_and_not1_saveexec_b32 s2, s27
	s_cbranch_execz .LBB1_31
; %bb.30:                               ;   in Loop: Header=BB1_9 Depth=2
	v_cvt_f32_u32_e32 v3, s16
	s_delay_alu instid0(VALU_DEP_1) | instskip(SKIP_1) | instid1(TRANS32_DEP_1)
	v_rcp_iflag_f32_e32 v3, v3
	v_nop
	v_mul_f32_e32 v3, 0x4f7ffffe, v3
	s_delay_alu instid0(VALU_DEP_1) | instskip(NEXT) | instid1(VALU_DEP_1)
	v_cvt_u32_f32_e32 v3, v3
	v_mul_lo_u32 v7, s33, v3
	s_delay_alu instid0(VALU_DEP_1) | instskip(NEXT) | instid1(VALU_DEP_1)
	v_mul_hi_u32 v7, v3, v7
	v_add_nc_u32_e32 v3, v3, v7
	s_delay_alu instid0(VALU_DEP_1) | instskip(NEXT) | instid1(VALU_DEP_1)
	v_mul_hi_u32 v3, v6, v3
	v_mul_lo_u32 v7, v3, s16
	s_delay_alu instid0(VALU_DEP_1) | instskip(SKIP_1) | instid1(VALU_DEP_2)
	v_sub_nc_u32_e32 v6, v6, v7
	v_add_nc_u32_e32 v7, 1, v3
	v_subrev_nc_u32_e32 v8, s16, v6
	v_cmp_le_u32_e32 vcc_lo, s16, v6
	s_delay_alu instid0(VALU_DEP_2) | instskip(NEXT) | instid1(VALU_DEP_1)
	v_dual_cndmask_b32 v6, v6, v8 :: v_dual_cndmask_b32 v3, v3, v7
	v_cmp_le_u32_e32 vcc_lo, s16, v6
	s_delay_alu instid0(VALU_DEP_2) | instskip(NEXT) | instid1(VALU_DEP_1)
	v_add_nc_u32_e32 v7, 1, v3
	v_cndmask_b32_e32 v10, v3, v7, vcc_lo
.LBB1_31:                               ;   in Loop: Header=BB1_9 Depth=2
	s_or_b32 exec_lo, exec_lo, s2
.LBB1_32:                               ;   in Loop: Header=BB1_9 Depth=2
	s_delay_alu instid0(SALU_CYCLE_1)
	s_or_b32 exec_lo, exec_lo, s26
	s_and_saveexec_b32 s2, s3
; %bb.33:                               ;   in Loop: Header=BB1_9 Depth=2
	s_delay_alu instid0(VALU_DEP_1)
	v_lshl_add_u32 v3, v10, 2, v29
	ds_add_u32 v3, v1
; %bb.34:                               ;   in Loop: Header=BB1_9 Depth=2
	s_or_b32 exec_lo, exec_lo, s2
	s_wait_loadcnt 0x0
	v_cmp_le_i64_e32 vcc_lo, s[12:13], v[4:5]
	v_cmp_gt_i64_e64 s2, s[14:15], v[4:5]
	s_and_b32 s35, vcc_lo, s2
	s_delay_alu instid0(SALU_CYCLE_1)
	s_and_saveexec_b32 s3, s35
	s_cbranch_execz .LBB1_40
; %bb.35:                               ;   in Loop: Header=BB1_9 Depth=2
	v_sub_nc_u64_e64 v[4:5], v[4:5], s[12:13]
                                        ; implicit-def: $vgpr10_vgpr11
	s_mov_b32 s2, exec_lo
	s_delay_alu instid0(VALU_DEP_1) | instskip(NEXT) | instid1(VALU_DEP_1)
	v_or_b32_e32 v3, s17, v5
	v_cmpx_ne_u64_e32 0, v[2:3]
	s_xor_b32 s26, exec_lo, s2
	s_cbranch_execz .LBB1_37
; %bb.36:                               ;   in Loop: Header=BB1_9 Depth=2
	s_mov_b32 s25, s24
	s_mov_b32 s41, s7
	s_add_nc_u64 s[4:5], s[16:17], s[24:25]
	s_mov_b32 s45, s7
	s_xor_b64 s[4:5], s[4:5], s[24:25]
	v_dual_mov_b32 v9, v2 :: v_dual_ashrrev_i32 v6, 31, v5
	s_cvt_f32_u32 s2, s4
	s_cvt_f32_u32 s25, s5
	s_sub_nc_u64 s[38:39], 0, s[4:5]
	s_delay_alu instid0(VALU_DEP_1) | instskip(NEXT) | instid1(SALU_CYCLE_1)
	v_mov_b32_e32 v7, v6
	s_fmamk_f32 s2, s25, 0x4f800000, s2
	s_delay_alu instid0(VALU_DEP_1) | instskip(NEXT) | instid1(SALU_CYCLE_2)
	v_add_nc_u64_e32 v[4:5], v[4:5], v[6:7]
	v_s_rcp_f32 s2, s2
	s_delay_alu instid0(VALU_DEP_1) | instskip(NEXT) | instid1(VALU_DEP_2)
	v_dual_mov_b32 v25, v2 :: v_dual_bitop2_b32 v24, v5, v6 bitop3:0x14
	v_xor_b32_e32 v8, v4, v6
	s_delay_alu instid0(TRANS32_DEP_1) | instskip(SKIP_1) | instid1(SALU_CYCLE_2)
	s_mul_f32 s2, s2, 0x5f7ffffc
	v_mov_b32_e32 v35, v2
	s_mul_f32 s25, s2, 0x2f800000
	s_delay_alu instid0(SALU_CYCLE_3) | instskip(NEXT) | instid1(SALU_CYCLE_3)
	s_trunc_f32 s25, s25
	s_fmamk_f32 s2, s25, 0xcf800000, s2
	s_cvt_u32_f32 s37, s25
	s_delay_alu instid0(SALU_CYCLE_2) | instskip(NEXT) | instid1(SALU_CYCLE_3)
	s_cvt_u32_f32 s36, s2
	s_mul_u64 s[42:43], s[38:39], s[36:37]
	s_delay_alu instid0(SALU_CYCLE_1)
	s_mul_hi_u32 s47, s36, s43
	s_mul_i32 s46, s36, s43
	s_mul_hi_u32 s40, s36, s42
	s_mul_i32 s25, s37, s42
	s_add_nc_u64 s[40:41], s[40:41], s[46:47]
	s_mul_hi_u32 s2, s37, s42
	s_mul_hi_u32 s27, s37, s43
	s_add_co_u32 s25, s40, s25
	s_add_co_ci_u32 s44, s41, s2
	s_mul_i32 s42, s37, s43
	s_add_co_ci_u32 s43, s27, 0
	s_delay_alu instid0(SALU_CYCLE_1) | instskip(SKIP_3) | instid1(SALU_CYCLE_1)
	s_add_nc_u64 s[40:41], s[44:45], s[42:43]
	s_mov_b32 s43, s7
	s_add_co_u32 s36, s36, s40
	s_cselect_b32 s2, -1, 0
	s_cmp_lg_u32 s2, 0
	s_add_co_ci_u32 s37, s37, s41
	s_mov_b32 s41, s7
	s_mul_u64 s[38:39], s[38:39], s[36:37]
	s_delay_alu instid0(SALU_CYCLE_1)
	s_mul_hi_u32 s45, s36, s39
	s_mul_i32 s44, s36, s39
	s_mul_hi_u32 s42, s36, s38
	s_mul_i32 s25, s37, s38
	s_add_nc_u64 s[42:43], s[42:43], s[44:45]
	s_mul_hi_u32 s2, s37, s38
	s_mul_hi_u32 s27, s37, s39
	s_add_co_u32 s25, s42, s25
	s_add_co_ci_u32 s40, s43, s2
	s_mul_i32 s38, s37, s39
	s_add_co_ci_u32 s39, s27, 0
	s_delay_alu instid0(SALU_CYCLE_1) | instskip(NEXT) | instid1(SALU_CYCLE_1)
	s_add_nc_u64 s[38:39], s[40:41], s[38:39]
	s_add_co_u32 s2, s36, s38
	s_cselect_b32 s25, -1, 0
	v_mul_hi_u32 v34, v8, s2
	s_cmp_lg_u32 s25, 0
	s_add_co_ci_u32 s40, s37, s39
	s_and_b64 s[36:37], s[2:3], s[22:23]
	v_mul_u64_e32 v[10:11], s[40:41], v[8:9]
	v_mul_u64_e32 v[4:5], s[36:37], v[24:25]
	;; [unrolled: 1-line block ×3, first 2 shown]
	s_delay_alu instid0(VALU_DEP_3) | instskip(NEXT) | instid1(VALU_DEP_1)
	v_add_nc_u64_e32 v[10:11], v[34:35], v[10:11]
	v_add_co_u32 v3, vcc_lo, v10, v4
	s_delay_alu instid0(VALU_DEP_2) | instskip(NEXT) | instid1(VALU_DEP_4)
	v_add_co_ci_u32_e32 v34, vcc_lo, v11, v5, vcc_lo
	v_add_co_ci_u32_e32 v33, vcc_lo, 0, v33, vcc_lo
	s_delay_alu instid0(VALU_DEP_1) | instskip(NEXT) | instid1(VALU_DEP_1)
	v_add_nc_u64_e32 v[4:5], v[34:35], v[32:33]
	v_mul_u64_e32 v[10:11], s[4:5], v[4:5]
	s_delay_alu instid0(VALU_DEP_1) | instskip(NEXT) | instid1(VALU_DEP_2)
	v_sub_nc_u32_e32 v3, v24, v11
	v_sub_co_u32 v7, vcc_lo, v8, v10
	s_delay_alu instid0(VALU_DEP_1) | instskip(NEXT) | instid1(VALU_DEP_3)
	v_sub_co_ci_u32_e64 v15, null, v24, v11, vcc_lo
	v_subrev_co_ci_u32_e64 v3, null, s5, v3, vcc_lo
	s_delay_alu instid0(VALU_DEP_3) | instskip(SKIP_1) | instid1(VALU_DEP_3)
	v_sub_co_u32 v8, s2, v7, s4
	v_add_nc_u64_e32 v[10:11], 1, v[4:5]
	v_subrev_co_ci_u32_e64 v3, null, 0, v3, s2
	s_delay_alu instid0(VALU_DEP_3) | instskip(SKIP_1) | instid1(VALU_DEP_3)
	v_cmp_le_u32_e32 vcc_lo, s4, v8
	v_cndmask_b32_e64 v8, 0, -1, vcc_lo
	v_cmp_le_u32_e32 vcc_lo, s5, v3
	v_cndmask_b32_e64 v9, 0, -1, vcc_lo
	;; [unrolled: 2-line block ×4, first 2 shown]
	v_cmp_eq_u32_e32 vcc_lo, s5, v3
	v_cndmask_b32_e32 v3, v9, v8, vcc_lo
	v_cmp_eq_u32_e32 vcc_lo, s5, v15
	v_add_nc_u64_e32 v[8:9], 2, v[4:5]
	v_cndmask_b32_e32 v7, v17, v7, vcc_lo
	s_delay_alu instid0(VALU_DEP_4) | instskip(NEXT) | instid1(VALU_DEP_3)
	v_cmp_ne_u32_e32 vcc_lo, 0, v3
	v_cndmask_b32_e32 v3, v11, v9, vcc_lo
	s_delay_alu instid0(VALU_DEP_3) | instskip(SKIP_1) | instid1(VALU_DEP_2)
	v_cmp_ne_u32_e64 s2, 0, v7
	v_dual_cndmask_b32 v7, v10, v8, vcc_lo :: v_dual_bitop2_b32 v6, s24, v6 bitop3:0x14
	v_cndmask_b32_e64 v3, v5, v3, s2
	s_delay_alu instid0(VALU_DEP_2) | instskip(NEXT) | instid1(VALU_DEP_2)
	v_dual_cndmask_b32 v4, v4, v7, s2 :: v_dual_mov_b32 v7, v6
	v_xor_b32_e32 v5, v3, v6
	s_delay_alu instid0(VALU_DEP_2) | instskip(NEXT) | instid1(VALU_DEP_1)
	v_xor_b32_e32 v4, v4, v6
	v_sub_nc_u64_e32 v[10:11], v[4:5], v[6:7]
                                        ; implicit-def: $vgpr4_vgpr5
.LBB1_37:                               ;   in Loop: Header=BB1_9 Depth=2
	s_and_not1_saveexec_b32 s2, s26
	s_cbranch_execz .LBB1_39
; %bb.38:                               ;   in Loop: Header=BB1_9 Depth=2
	v_cvt_f32_u32_e32 v3, s16
	s_delay_alu instid0(VALU_DEP_1) | instskip(SKIP_1) | instid1(TRANS32_DEP_1)
	v_rcp_iflag_f32_e32 v3, v3
	v_nop
	v_mul_f32_e32 v3, 0x4f7ffffe, v3
	s_delay_alu instid0(VALU_DEP_1) | instskip(NEXT) | instid1(VALU_DEP_1)
	v_cvt_u32_f32_e32 v3, v3
	v_mul_lo_u32 v5, s33, v3
	s_delay_alu instid0(VALU_DEP_1) | instskip(NEXT) | instid1(VALU_DEP_1)
	v_mul_hi_u32 v5, v3, v5
	v_add_nc_u32_e32 v3, v3, v5
	s_delay_alu instid0(VALU_DEP_1) | instskip(NEXT) | instid1(VALU_DEP_1)
	v_mul_hi_u32 v3, v4, v3
	v_mul_lo_u32 v5, v3, s16
	s_delay_alu instid0(VALU_DEP_1) | instskip(NEXT) | instid1(VALU_DEP_1)
	v_dual_sub_nc_u32 v4, v4, v5 :: v_dual_add_nc_u32 v5, 1, v3
	v_subrev_nc_u32_e32 v6, s16, v4
	v_cmp_le_u32_e32 vcc_lo, s16, v4
	s_delay_alu instid0(VALU_DEP_2) | instskip(NEXT) | instid1(VALU_DEP_1)
	v_dual_cndmask_b32 v4, v4, v6 :: v_dual_cndmask_b32 v3, v3, v5
	v_cmp_le_u32_e32 vcc_lo, s16, v4
	s_delay_alu instid0(VALU_DEP_2) | instskip(NEXT) | instid1(VALU_DEP_1)
	v_add_nc_u32_e32 v5, 1, v3
	v_cndmask_b32_e32 v10, v3, v5, vcc_lo
.LBB1_39:                               ;   in Loop: Header=BB1_9 Depth=2
	s_or_b32 exec_lo, exec_lo, s2
.LBB1_40:                               ;   in Loop: Header=BB1_9 Depth=2
	s_delay_alu instid0(SALU_CYCLE_1)
	s_or_b32 exec_lo, exec_lo, s3
.LBB1_41:                               ;   in Loop: Header=BB1_9 Depth=2
	s_delay_alu instid0(VALU_DEP_1)
	v_mov_b32_e32 v30, v10
	s_and_saveexec_b32 s2, s35
	s_cbranch_execz .LBB1_8
	s_branch .LBB1_90
.LBB1_42:                               ;   in Loop: Header=BB1_9 Depth=2
	s_mov_b32 s35, 0
                                        ; implicit-def: $vgpr10
	s_cbranch_execz .LBB1_41
; %bb.43:                               ;   in Loop: Header=BB1_9 Depth=2
	v_dual_mov_b32 v7, v2 :: v_dual_mov_b32 v8, v2
	v_dual_mov_b32 v9, v2 :: v_dual_mov_b32 v3, v2
	;; [unrolled: 1-line block ×3, first 2 shown]
	v_mov_b32_e32 v6, v2
	s_delay_alu instid0(VALU_DEP_3) | instskip(NEXT) | instid1(VALU_DEP_2)
	v_mov_b64_e32 v[10:11], v[8:9]
	v_mov_b64_e32 v[8:9], v[6:7]
	s_delay_alu instid0(VALU_DEP_4)
	v_mov_b64_e32 v[6:7], v[4:5]
	v_mov_b64_e32 v[4:5], v[2:3]
	v_lshl_add_u64 v[24:25], s[6:7], 3, v[20:21]
	v_cmp_gt_u32_e32 vcc_lo, s34, v12
	s_and_saveexec_b32 s2, vcc_lo
	s_cbranch_execnz .LBB1_51
; %bb.44:                               ;   in Loop: Header=BB1_9 Depth=2
	s_or_b32 exec_lo, exec_lo, s2
	v_cmp_gt_u32_e64 s4, s34, v26
	s_and_saveexec_b32 s2, s4
	s_cbranch_execnz .LBB1_52
.LBB1_45:                               ;   in Loop: Header=BB1_9 Depth=2
	s_or_b32 exec_lo, exec_lo, s2
	v_cmp_gt_u32_e64 s3, s34, v27
	s_and_saveexec_b32 s2, s3
	s_cbranch_execnz .LBB1_53
.LBB1_46:                               ;   in Loop: Header=BB1_9 Depth=2
	s_or_b32 exec_lo, exec_lo, s2
	v_cmp_gt_u32_e64 s2, s34, v28
	s_and_saveexec_b32 s5, s2
	s_cbranch_execnz .LBB1_54
.LBB1_47:                               ;   in Loop: Header=BB1_9 Depth=2
	s_or_b32 exec_lo, exec_lo, s5
	s_and_saveexec_b32 s36, vcc_lo
	s_cbranch_execnz .LBB1_55
.LBB1_48:                               ;   in Loop: Header=BB1_9 Depth=2
	s_or_b32 exec_lo, exec_lo, s36
	s_and_saveexec_b32 s5, s4
	s_cbranch_execnz .LBB1_64
.LBB1_49:                               ;   in Loop: Header=BB1_9 Depth=2
	s_or_b32 exec_lo, exec_lo, s5
	s_and_saveexec_b32 s26, s3
	s_cbranch_execnz .LBB1_73
.LBB1_50:                               ;   in Loop: Header=BB1_9 Depth=2
	s_or_b32 exec_lo, exec_lo, s26
	s_and_saveexec_b32 s3, s2
	s_cbranch_execnz .LBB1_82
	s_branch .LBB1_89
.LBB1_51:                               ;   in Loop: Header=BB1_9 Depth=2
	global_load_b64 v[4:5], v[24:25], off
	v_dual_mov_b32 v6, v2 :: v_dual_mov_b32 v7, v2
	v_dual_mov_b32 v8, v2 :: v_dual_mov_b32 v9, v2
	;; [unrolled: 1-line block ×3, first 2 shown]
	s_wait_xcnt 0x0
	s_or_b32 exec_lo, exec_lo, s2
	v_cmp_gt_u32_e64 s4, s34, v26
	s_and_saveexec_b32 s2, s4
	s_cbranch_execz .LBB1_45
.LBB1_52:                               ;   in Loop: Header=BB1_9 Depth=2
	global_load_b64 v[6:7], v[24:25], off offset:8
	s_wait_xcnt 0x0
	s_or_b32 exec_lo, exec_lo, s2
	v_cmp_gt_u32_e64 s3, s34, v27
	s_and_saveexec_b32 s2, s3
	s_cbranch_execz .LBB1_46
.LBB1_53:                               ;   in Loop: Header=BB1_9 Depth=2
	global_load_b64 v[8:9], v[24:25], off offset:16
	s_wait_xcnt 0x0
	s_or_b32 exec_lo, exec_lo, s2
	v_cmp_gt_u32_e64 s2, s34, v28
	s_and_saveexec_b32 s5, s2
	s_cbranch_execz .LBB1_47
.LBB1_54:                               ;   in Loop: Header=BB1_9 Depth=2
	global_load_b64 v[10:11], v[24:25], off offset:24
	s_wait_xcnt 0x0
	s_or_b32 exec_lo, exec_lo, s5
	s_and_saveexec_b32 s36, vcc_lo
	s_cbranch_execz .LBB1_48
.LBB1_55:                               ;   in Loop: Header=BB1_9 Depth=2
	s_wait_loadcnt 0x0
	v_cmp_le_i64_e32 vcc_lo, s[12:13], v[4:5]
	v_cmp_gt_i64_e64 s5, s[14:15], v[4:5]
	s_and_b32 s37, vcc_lo, s5
	s_delay_alu instid0(SALU_CYCLE_1)
	s_and_saveexec_b32 s38, s37
	s_cbranch_execz .LBB1_61
; %bb.56:                               ;   in Loop: Header=BB1_9 Depth=2
	v_sub_nc_u64_e64 v[4:5], v[4:5], s[12:13]
                                        ; implicit-def: $vgpr22_vgpr23
	s_mov_b32 s5, exec_lo
	s_delay_alu instid0(VALU_DEP_1) | instskip(NEXT) | instid1(VALU_DEP_1)
	v_or_b32_e32 v3, s17, v5
	v_cmpx_ne_u64_e32 0, v[2:3]
	s_xor_b32 s39, exec_lo, s5
	s_cbranch_execz .LBB1_58
; %bb.57:                               ;   in Loop: Header=BB1_9 Depth=2
	s_mov_b32 s25, s24
	s_mov_b32 s45, s7
	s_add_nc_u64 s[26:27], s[16:17], s[24:25]
	s_mov_b32 s49, s7
	s_xor_b64 s[26:27], s[26:27], s[24:25]
	v_dual_mov_b32 v25, v2 :: v_dual_ashrrev_i32 v22, 31, v5
	s_cvt_f32_u32 s5, s26
	s_cvt_f32_u32 s25, s27
	s_sub_nc_u64 s[42:43], 0, s[26:27]
	s_delay_alu instid0(VALU_DEP_1) | instskip(NEXT) | instid1(SALU_CYCLE_1)
	v_dual_mov_b32 v23, v22 :: v_dual_mov_b32 v39, v2
	s_fmamk_f32 s5, s25, 0x4f800000, s5
	s_delay_alu instid0(VALU_DEP_1) | instskip(NEXT) | instid1(SALU_CYCLE_2)
	v_add_nc_u64_e32 v[4:5], v[4:5], v[22:23]
	v_s_rcp_f32 s5, s5
	s_delay_alu instid0(VALU_DEP_1) | instskip(NEXT) | instid1(VALU_DEP_2)
	v_dual_mov_b32 v35, v2 :: v_dual_bitop2_b32 v34, v5, v22 bitop3:0x14
	v_xor_b32_e32 v24, v4, v22
	s_delay_alu instid0(TRANS32_DEP_1) | instskip(NEXT) | instid1(SALU_CYCLE_3)
	s_mul_f32 s5, s5, 0x5f7ffffc
	s_mul_f32 s25, s5, 0x2f800000
	s_delay_alu instid0(SALU_CYCLE_3) | instskip(NEXT) | instid1(SALU_CYCLE_3)
	s_trunc_f32 s25, s25
	s_fmamk_f32 s5, s25, 0xcf800000, s5
	s_cvt_u32_f32 s41, s25
	s_delay_alu instid0(SALU_CYCLE_2) | instskip(NEXT) | instid1(SALU_CYCLE_3)
	s_cvt_u32_f32 s40, s5
	s_mul_u64 s[46:47], s[42:43], s[40:41]
	s_delay_alu instid0(SALU_CYCLE_1)
	s_mul_hi_u32 s51, s40, s47
	s_mul_i32 s50, s40, s47
	s_mul_hi_u32 s44, s40, s46
	s_mul_i32 s25, s41, s46
	s_add_nc_u64 s[44:45], s[44:45], s[50:51]
	s_mul_hi_u32 s5, s41, s46
	s_mul_hi_u32 s52, s41, s47
	s_add_co_u32 s25, s44, s25
	s_add_co_ci_u32 s48, s45, s5
	s_mul_i32 s46, s41, s47
	s_add_co_ci_u32 s47, s52, 0
	s_delay_alu instid0(SALU_CYCLE_1) | instskip(SKIP_3) | instid1(SALU_CYCLE_1)
	s_add_nc_u64 s[44:45], s[48:49], s[46:47]
	s_mov_b32 s47, s7
	s_add_co_u32 s40, s40, s44
	s_cselect_b32 s5, -1, 0
	s_cmp_lg_u32 s5, 0
	s_add_co_ci_u32 s41, s41, s45
	s_mov_b32 s45, s7
	s_mul_u64 s[42:43], s[42:43], s[40:41]
	s_delay_alu instid0(SALU_CYCLE_1)
	s_mul_hi_u32 s49, s40, s43
	s_mul_i32 s48, s40, s43
	s_mul_hi_u32 s46, s40, s42
	s_mul_i32 s25, s41, s42
	s_add_nc_u64 s[46:47], s[46:47], s[48:49]
	s_mul_hi_u32 s5, s41, s42
	s_mul_hi_u32 s50, s41, s43
	s_add_co_u32 s25, s46, s25
	s_add_co_ci_u32 s44, s47, s5
	s_mul_i32 s42, s41, s43
	s_add_co_ci_u32 s43, s50, 0
	s_delay_alu instid0(SALU_CYCLE_1) | instskip(NEXT) | instid1(SALU_CYCLE_1)
	s_add_nc_u64 s[42:43], s[44:45], s[42:43]
	s_add_co_u32 s40, s40, s42
	s_cselect_b32 s5, -1, 0
	v_mul_hi_u32 v38, v24, s40
	s_cmp_lg_u32 s5, 0
	s_add_co_ci_u32 s44, s41, s43
	s_and_b64 s[42:43], s[40:41], s[22:23]
	v_mul_u64_e32 v[32:33], s[44:45], v[24:25]
	v_mul_u64_e32 v[4:5], s[42:43], v[34:35]
	;; [unrolled: 1-line block ×3, first 2 shown]
	s_delay_alu instid0(VALU_DEP_3) | instskip(NEXT) | instid1(VALU_DEP_1)
	v_add_nc_u64_e32 v[32:33], v[38:39], v[32:33]
	v_add_co_u32 v3, vcc_lo, v32, v4
	s_delay_alu instid0(VALU_DEP_2) | instskip(NEXT) | instid1(VALU_DEP_4)
	v_add_co_ci_u32_e32 v38, vcc_lo, v33, v5, vcc_lo
	v_add_co_ci_u32_e32 v37, vcc_lo, 0, v37, vcc_lo
	s_delay_alu instid0(VALU_DEP_1) | instskip(NEXT) | instid1(VALU_DEP_1)
	v_add_nc_u64_e32 v[4:5], v[38:39], v[36:37]
	v_mul_u64_e32 v[32:33], s[26:27], v[4:5]
	s_delay_alu instid0(VALU_DEP_1) | instskip(NEXT) | instid1(VALU_DEP_2)
	v_sub_nc_u32_e32 v3, v34, v33
	v_sub_co_u32 v15, vcc_lo, v24, v32
	s_delay_alu instid0(VALU_DEP_1) | instskip(NEXT) | instid1(VALU_DEP_3)
	v_sub_co_ci_u32_e64 v23, null, v34, v33, vcc_lo
	v_subrev_co_ci_u32_e64 v3, null, s27, v3, vcc_lo
	s_delay_alu instid0(VALU_DEP_3) | instskip(SKIP_1) | instid1(VALU_DEP_3)
	v_sub_co_u32 v17, s5, v15, s26
	v_add_nc_u64_e32 v[32:33], 1, v[4:5]
	v_subrev_co_ci_u32_e64 v3, null, 0, v3, s5
	s_delay_alu instid0(VALU_DEP_3) | instskip(SKIP_1) | instid1(VALU_DEP_3)
	v_cmp_le_u32_e32 vcc_lo, s26, v17
	v_cndmask_b32_e64 v17, 0, -1, vcc_lo
	v_cmp_le_u32_e32 vcc_lo, s27, v3
	v_cndmask_b32_e64 v24, 0, -1, vcc_lo
	;; [unrolled: 2-line block ×4, first 2 shown]
	v_cmp_eq_u32_e32 vcc_lo, s27, v3
	v_cndmask_b32_e32 v3, v24, v17, vcc_lo
	v_cmp_eq_u32_e32 vcc_lo, s27, v23
	v_add_nc_u64_e32 v[24:25], 2, v[4:5]
	v_cndmask_b32_e32 v15, v31, v15, vcc_lo
	s_delay_alu instid0(VALU_DEP_4) | instskip(NEXT) | instid1(VALU_DEP_2)
	v_cmp_ne_u32_e32 vcc_lo, 0, v3
	v_cmp_ne_u32_e64 s5, 0, v15
	s_delay_alu instid0(VALU_DEP_4) | instskip(NEXT) | instid1(VALU_DEP_1)
	v_dual_cndmask_b32 v3, v33, v25, vcc_lo :: v_dual_cndmask_b32 v15, v32, v24, vcc_lo
	v_dual_cndmask_b32 v3, v5, v3, s5 :: v_dual_bitop2_b32 v22, s24, v22 bitop3:0x14
	s_delay_alu instid0(VALU_DEP_1) | instskip(NEXT) | instid1(VALU_DEP_2)
	v_dual_cndmask_b32 v4, v4, v15, s5 :: v_dual_mov_b32 v23, v22
	v_xor_b32_e32 v5, v3, v22
	s_delay_alu instid0(VALU_DEP_2) | instskip(NEXT) | instid1(VALU_DEP_1)
	v_xor_b32_e32 v4, v4, v22
	v_sub_nc_u64_e32 v[22:23], v[4:5], v[22:23]
                                        ; implicit-def: $vgpr4_vgpr5
.LBB1_58:                               ;   in Loop: Header=BB1_9 Depth=2
	s_and_not1_saveexec_b32 s5, s39
	s_cbranch_execz .LBB1_60
; %bb.59:                               ;   in Loop: Header=BB1_9 Depth=2
	v_cvt_f32_u32_e32 v3, s16
	s_delay_alu instid0(VALU_DEP_1) | instskip(SKIP_1) | instid1(TRANS32_DEP_1)
	v_rcp_iflag_f32_e32 v3, v3
	v_nop
	v_mul_f32_e32 v3, 0x4f7ffffe, v3
	s_delay_alu instid0(VALU_DEP_1) | instskip(NEXT) | instid1(VALU_DEP_1)
	v_cvt_u32_f32_e32 v3, v3
	v_mul_lo_u32 v5, s33, v3
	s_delay_alu instid0(VALU_DEP_1) | instskip(NEXT) | instid1(VALU_DEP_1)
	v_mul_hi_u32 v5, v3, v5
	v_add_nc_u32_e32 v3, v3, v5
	s_delay_alu instid0(VALU_DEP_1) | instskip(NEXT) | instid1(VALU_DEP_1)
	v_mul_hi_u32 v3, v4, v3
	v_mul_lo_u32 v5, v3, s16
	s_delay_alu instid0(VALU_DEP_1) | instskip(NEXT) | instid1(VALU_DEP_1)
	v_dual_sub_nc_u32 v4, v4, v5 :: v_dual_add_nc_u32 v5, 1, v3
	v_subrev_nc_u32_e32 v15, s16, v4
	v_cmp_le_u32_e32 vcc_lo, s16, v4
	s_delay_alu instid0(VALU_DEP_2) | instskip(NEXT) | instid1(VALU_DEP_1)
	v_dual_cndmask_b32 v4, v4, v15 :: v_dual_cndmask_b32 v3, v3, v5
	v_cmp_le_u32_e32 vcc_lo, s16, v4
	s_delay_alu instid0(VALU_DEP_2) | instskip(NEXT) | instid1(VALU_DEP_1)
	v_add_nc_u32_e32 v5, 1, v3
	v_cndmask_b32_e32 v22, v3, v5, vcc_lo
.LBB1_60:                               ;   in Loop: Header=BB1_9 Depth=2
	s_or_b32 exec_lo, exec_lo, s5
.LBB1_61:                               ;   in Loop: Header=BB1_9 Depth=2
	s_delay_alu instid0(SALU_CYCLE_1)
	s_or_b32 exec_lo, exec_lo, s38
	s_and_saveexec_b32 s5, s37
; %bb.62:                               ;   in Loop: Header=BB1_9 Depth=2
	s_delay_alu instid0(VALU_DEP_1)
	v_lshl_add_u32 v3, v22, 2, v29
	ds_add_u32 v3, v1
; %bb.63:                               ;   in Loop: Header=BB1_9 Depth=2
	s_or_b32 exec_lo, exec_lo, s5
	s_delay_alu instid0(SALU_CYCLE_1)
	s_or_b32 exec_lo, exec_lo, s36
	s_and_saveexec_b32 s5, s4
	s_cbranch_execz .LBB1_49
.LBB1_64:                               ;   in Loop: Header=BB1_9 Depth=2
	s_wait_loadcnt 0x0
	v_cmp_le_i64_e32 vcc_lo, s[12:13], v[6:7]
	v_cmp_gt_i64_e64 s4, s[14:15], v[6:7]
	s_and_b32 s36, vcc_lo, s4
	s_delay_alu instid0(SALU_CYCLE_1)
	s_and_saveexec_b32 s37, s36
	s_cbranch_execz .LBB1_70
; %bb.65:                               ;   in Loop: Header=BB1_9 Depth=2
	v_sub_nc_u64_e64 v[4:5], v[6:7], s[12:13]
                                        ; implicit-def: $vgpr22_vgpr23
	s_mov_b32 s4, exec_lo
	s_delay_alu instid0(VALU_DEP_1) | instskip(NEXT) | instid1(VALU_DEP_1)
	v_or_b32_e32 v3, s17, v5
	v_cmpx_ne_u64_e32 0, v[2:3]
	s_xor_b32 s38, exec_lo, s4
	s_cbranch_execz .LBB1_67
; %bb.66:                               ;   in Loop: Header=BB1_9 Depth=2
	s_mov_b32 s25, s24
	s_mov_b32 s45, s7
	s_add_nc_u64 s[26:27], s[16:17], s[24:25]
	s_mov_b32 s49, s7
	s_xor_b64 s[26:27], s[26:27], s[24:25]
	v_dual_mov_b32 v23, v2 :: v_dual_ashrrev_i32 v6, 31, v5
	s_cvt_f32_u32 s4, s26
	s_cvt_f32_u32 s25, s27
	s_sub_nc_u64 s[42:43], 0, s[26:27]
	s_delay_alu instid0(VALU_DEP_1) | instskip(NEXT) | instid1(SALU_CYCLE_1)
	v_mov_b32_e32 v7, v6
	s_fmamk_f32 s4, s25, 0x4f800000, s4
	s_delay_alu instid0(VALU_DEP_1) | instskip(NEXT) | instid1(SALU_CYCLE_2)
	v_add_nc_u64_e32 v[4:5], v[4:5], v[6:7]
	v_s_rcp_f32 s4, s4
	s_delay_alu instid0(VALU_DEP_1) | instskip(NEXT) | instid1(VALU_DEP_2)
	v_dual_mov_b32 v33, v2 :: v_dual_bitop2_b32 v32, v5, v6 bitop3:0x14
	v_xor_b32_e32 v22, v4, v6
	s_delay_alu instid0(TRANS32_DEP_1) | instskip(SKIP_1) | instid1(SALU_CYCLE_2)
	s_mul_f32 s4, s4, 0x5f7ffffc
	v_dual_mov_b32 v37, v2 :: v_dual_bitop2_b32 v6, s24, v6 bitop3:0x14
	s_mul_f32 s25, s4, 0x2f800000
	s_delay_alu instid0(SALU_CYCLE_3) | instskip(NEXT) | instid1(SALU_CYCLE_3)
	s_trunc_f32 s25, s25
	s_fmamk_f32 s4, s25, 0xcf800000, s4
	s_cvt_u32_f32 s41, s25
	s_delay_alu instid0(SALU_CYCLE_2) | instskip(NEXT) | instid1(SALU_CYCLE_3)
	s_cvt_u32_f32 s40, s4
	s_mul_u64 s[46:47], s[42:43], s[40:41]
	s_delay_alu instid0(SALU_CYCLE_1)
	s_mul_hi_u32 s51, s40, s47
	s_mul_i32 s50, s40, s47
	s_mul_hi_u32 s44, s40, s46
	s_mul_i32 s25, s41, s46
	s_add_nc_u64 s[44:45], s[44:45], s[50:51]
	s_mul_hi_u32 s4, s41, s46
	s_mul_hi_u32 s39, s41, s47
	s_add_co_u32 s25, s44, s25
	s_add_co_ci_u32 s48, s45, s4
	s_mul_i32 s46, s41, s47
	s_add_co_ci_u32 s47, s39, 0
	s_delay_alu instid0(SALU_CYCLE_1) | instskip(SKIP_3) | instid1(SALU_CYCLE_1)
	s_add_nc_u64 s[44:45], s[48:49], s[46:47]
	s_mov_b32 s47, s7
	s_add_co_u32 s40, s40, s44
	s_cselect_b32 s4, -1, 0
	s_cmp_lg_u32 s4, 0
	s_add_co_ci_u32 s41, s41, s45
	s_mov_b32 s45, s7
	s_mul_u64 s[42:43], s[42:43], s[40:41]
	s_delay_alu instid0(SALU_CYCLE_1)
	s_mul_hi_u32 s49, s40, s43
	s_mul_i32 s48, s40, s43
	s_mul_hi_u32 s46, s40, s42
	s_mul_i32 s25, s41, s42
	s_add_nc_u64 s[46:47], s[46:47], s[48:49]
	s_mul_hi_u32 s4, s41, s42
	s_mul_hi_u32 s39, s41, s43
	s_add_co_u32 s25, s46, s25
	s_add_co_ci_u32 s44, s47, s4
	s_mul_i32 s42, s41, s43
	s_add_co_ci_u32 s43, s39, 0
	s_delay_alu instid0(SALU_CYCLE_1) | instskip(NEXT) | instid1(SALU_CYCLE_1)
	s_add_nc_u64 s[42:43], s[44:45], s[42:43]
	s_add_co_u32 s4, s40, s42
	s_cselect_b32 s25, -1, 0
	v_mul_hi_u32 v36, v22, s4
	s_cmp_lg_u32 s25, 0
	s_add_co_ci_u32 s44, s41, s43
	s_and_b64 s[40:41], s[4:5], s[22:23]
	v_mul_u64_e32 v[24:25], s[44:45], v[22:23]
	v_mul_u64_e32 v[4:5], s[40:41], v[32:33]
	;; [unrolled: 1-line block ×3, first 2 shown]
	s_delay_alu instid0(VALU_DEP_3) | instskip(NEXT) | instid1(VALU_DEP_1)
	v_add_nc_u64_e32 v[24:25], v[36:37], v[24:25]
	v_add_co_u32 v3, vcc_lo, v24, v4
	s_delay_alu instid0(VALU_DEP_2) | instskip(NEXT) | instid1(VALU_DEP_4)
	v_add_co_ci_u32_e32 v36, vcc_lo, v25, v5, vcc_lo
	v_add_co_ci_u32_e32 v35, vcc_lo, 0, v35, vcc_lo
	s_delay_alu instid0(VALU_DEP_1) | instskip(NEXT) | instid1(VALU_DEP_1)
	v_add_nc_u64_e32 v[4:5], v[36:37], v[34:35]
	v_mul_u64_e32 v[24:25], s[26:27], v[4:5]
	s_delay_alu instid0(VALU_DEP_1) | instskip(NEXT) | instid1(VALU_DEP_2)
	v_sub_nc_u32_e32 v3, v32, v25
	v_sub_co_u32 v7, vcc_lo, v22, v24
	s_delay_alu instid0(VALU_DEP_1) | instskip(NEXT) | instid1(VALU_DEP_3)
	v_sub_co_ci_u32_e64 v17, null, v32, v25, vcc_lo
	v_subrev_co_ci_u32_e64 v3, null, s27, v3, vcc_lo
	s_delay_alu instid0(VALU_DEP_3) | instskip(SKIP_1) | instid1(VALU_DEP_3)
	v_sub_co_u32 v15, s4, v7, s26
	v_add_nc_u64_e32 v[24:25], 1, v[4:5]
	v_subrev_co_ci_u32_e64 v3, null, 0, v3, s4
	s_delay_alu instid0(VALU_DEP_3) | instskip(SKIP_1) | instid1(VALU_DEP_3)
	v_cmp_le_u32_e32 vcc_lo, s26, v15
	v_cndmask_b32_e64 v15, 0, -1, vcc_lo
	v_cmp_le_u32_e32 vcc_lo, s27, v3
	v_cndmask_b32_e64 v22, 0, -1, vcc_lo
	;; [unrolled: 2-line block ×4, first 2 shown]
	v_cmp_eq_u32_e32 vcc_lo, s27, v3
	v_cndmask_b32_e32 v3, v22, v15, vcc_lo
	v_cmp_eq_u32_e32 vcc_lo, s27, v17
	v_add_nc_u64_e32 v[22:23], 2, v[4:5]
	v_cndmask_b32_e32 v7, v31, v7, vcc_lo
	s_delay_alu instid0(VALU_DEP_4) | instskip(NEXT) | instid1(VALU_DEP_2)
	v_cmp_ne_u32_e32 vcc_lo, 0, v3
	v_cmp_ne_u32_e64 s4, 0, v7
	s_delay_alu instid0(VALU_DEP_4) | instskip(NEXT) | instid1(VALU_DEP_1)
	v_dual_cndmask_b32 v3, v25, v23, vcc_lo :: v_dual_cndmask_b32 v7, v24, v22, vcc_lo
	v_dual_cndmask_b32 v4, v4, v7, s4 :: v_dual_mov_b32 v7, v6
	s_delay_alu instid0(VALU_DEP_1) | instskip(NEXT) | instid1(VALU_DEP_1)
	v_dual_cndmask_b32 v3, v5, v3, s4 :: v_dual_bitop2_b32 v4, v4, v6 bitop3:0x14
	v_xor_b32_e32 v5, v3, v6
	s_delay_alu instid0(VALU_DEP_1)
	v_sub_nc_u64_e32 v[22:23], v[4:5], v[6:7]
                                        ; implicit-def: $vgpr4_vgpr5
.LBB1_67:                               ;   in Loop: Header=BB1_9 Depth=2
	s_and_not1_saveexec_b32 s4, s38
	s_cbranch_execz .LBB1_69
; %bb.68:                               ;   in Loop: Header=BB1_9 Depth=2
	v_cvt_f32_u32_e32 v3, s16
	s_delay_alu instid0(VALU_DEP_1) | instskip(SKIP_1) | instid1(TRANS32_DEP_1)
	v_rcp_iflag_f32_e32 v3, v3
	v_nop
	v_mul_f32_e32 v3, 0x4f7ffffe, v3
	s_delay_alu instid0(VALU_DEP_1) | instskip(NEXT) | instid1(VALU_DEP_1)
	v_cvt_u32_f32_e32 v3, v3
	v_mul_lo_u32 v5, s33, v3
	s_delay_alu instid0(VALU_DEP_1) | instskip(NEXT) | instid1(VALU_DEP_1)
	v_mul_hi_u32 v5, v3, v5
	v_add_nc_u32_e32 v3, v3, v5
	s_delay_alu instid0(VALU_DEP_1) | instskip(NEXT) | instid1(VALU_DEP_1)
	v_mul_hi_u32 v3, v4, v3
	v_mul_lo_u32 v5, v3, s16
	s_delay_alu instid0(VALU_DEP_1) | instskip(NEXT) | instid1(VALU_DEP_1)
	v_dual_sub_nc_u32 v4, v4, v5 :: v_dual_add_nc_u32 v5, 1, v3
	v_subrev_nc_u32_e32 v6, s16, v4
	v_cmp_le_u32_e32 vcc_lo, s16, v4
	s_delay_alu instid0(VALU_DEP_2) | instskip(NEXT) | instid1(VALU_DEP_1)
	v_dual_cndmask_b32 v4, v4, v6 :: v_dual_cndmask_b32 v3, v3, v5
	v_cmp_le_u32_e32 vcc_lo, s16, v4
	s_delay_alu instid0(VALU_DEP_2) | instskip(NEXT) | instid1(VALU_DEP_1)
	v_add_nc_u32_e32 v5, 1, v3
	v_cndmask_b32_e32 v22, v3, v5, vcc_lo
.LBB1_69:                               ;   in Loop: Header=BB1_9 Depth=2
	s_or_b32 exec_lo, exec_lo, s4
.LBB1_70:                               ;   in Loop: Header=BB1_9 Depth=2
	s_delay_alu instid0(SALU_CYCLE_1)
	s_or_b32 exec_lo, exec_lo, s37
	s_and_saveexec_b32 s4, s36
; %bb.71:                               ;   in Loop: Header=BB1_9 Depth=2
	s_delay_alu instid0(VALU_DEP_1)
	v_lshl_add_u32 v3, v22, 2, v29
	ds_add_u32 v3, v1
; %bb.72:                               ;   in Loop: Header=BB1_9 Depth=2
	s_or_b32 exec_lo, exec_lo, s4
	s_delay_alu instid0(SALU_CYCLE_1)
	s_or_b32 exec_lo, exec_lo, s5
	s_and_saveexec_b32 s26, s3
	s_cbranch_execz .LBB1_50
.LBB1_73:                               ;   in Loop: Header=BB1_9 Depth=2
	s_wait_loadcnt 0x0
	v_cmp_le_i64_e32 vcc_lo, s[12:13], v[8:9]
	v_cmp_gt_i64_e64 s3, s[14:15], v[8:9]
	s_and_b32 s27, vcc_lo, s3
	s_delay_alu instid0(SALU_CYCLE_1)
	s_and_saveexec_b32 s36, s27
	s_cbranch_execz .LBB1_79
; %bb.74:                               ;   in Loop: Header=BB1_9 Depth=2
	v_sub_nc_u64_e64 v[4:5], v[8:9], s[12:13]
                                        ; implicit-def: $vgpr22_vgpr23
	s_mov_b32 s3, exec_lo
	s_delay_alu instid0(VALU_DEP_1) | instskip(NEXT) | instid1(VALU_DEP_1)
	v_or_b32_e32 v3, s17, v5
	v_cmpx_ne_u64_e32 0, v[2:3]
	s_xor_b32 s37, exec_lo, s3
	s_cbranch_execz .LBB1_76
; %bb.75:                               ;   in Loop: Header=BB1_9 Depth=2
	s_mov_b32 s25, s24
	s_mov_b32 s43, s7
	s_add_nc_u64 s[4:5], s[16:17], s[24:25]
	s_mov_b32 s47, s7
	s_xor_b64 s[4:5], s[4:5], s[24:25]
	v_dual_mov_b32 v9, v2 :: v_dual_ashrrev_i32 v6, 31, v5
	s_cvt_f32_u32 s3, s4
	s_cvt_f32_u32 s25, s5
	s_sub_nc_u64 s[40:41], 0, s[4:5]
	s_delay_alu instid0(VALU_DEP_1) | instskip(NEXT) | instid1(SALU_CYCLE_1)
	v_mov_b32_e32 v7, v6
	s_fmamk_f32 s3, s25, 0x4f800000, s3
	s_delay_alu instid0(VALU_DEP_1) | instskip(NEXT) | instid1(SALU_CYCLE_2)
	v_add_nc_u64_e32 v[4:5], v[4:5], v[6:7]
	v_s_rcp_f32 s3, s3
	s_delay_alu instid0(VALU_DEP_1) | instskip(NEXT) | instid1(VALU_DEP_2)
	v_dual_mov_b32 v25, v2 :: v_dual_bitop2_b32 v24, v5, v6 bitop3:0x14
	v_xor_b32_e32 v8, v4, v6
	s_delay_alu instid0(TRANS32_DEP_1) | instskip(SKIP_1) | instid1(SALU_CYCLE_2)
	s_mul_f32 s3, s3, 0x5f7ffffc
	v_mov_b32_e32 v35, v2
	s_mul_f32 s25, s3, 0x2f800000
	s_delay_alu instid0(SALU_CYCLE_3) | instskip(NEXT) | instid1(SALU_CYCLE_3)
	s_trunc_f32 s25, s25
	s_fmamk_f32 s3, s25, 0xcf800000, s3
	s_cvt_u32_f32 s39, s25
	s_delay_alu instid0(SALU_CYCLE_2) | instskip(NEXT) | instid1(SALU_CYCLE_3)
	s_cvt_u32_f32 s38, s3
	s_mul_u64 s[44:45], s[40:41], s[38:39]
	s_delay_alu instid0(SALU_CYCLE_1)
	s_mul_hi_u32 s49, s38, s45
	s_mul_i32 s48, s38, s45
	s_mul_hi_u32 s42, s38, s44
	s_mul_i32 s25, s39, s44
	s_add_nc_u64 s[42:43], s[42:43], s[48:49]
	s_mul_hi_u32 s3, s39, s44
	s_mul_hi_u32 s50, s39, s45
	s_add_co_u32 s25, s42, s25
	s_add_co_ci_u32 s46, s43, s3
	s_mul_i32 s44, s39, s45
	s_add_co_ci_u32 s45, s50, 0
	s_delay_alu instid0(SALU_CYCLE_1) | instskip(SKIP_3) | instid1(SALU_CYCLE_1)
	s_add_nc_u64 s[42:43], s[46:47], s[44:45]
	s_mov_b32 s45, s7
	s_add_co_u32 s38, s38, s42
	s_cselect_b32 s3, -1, 0
	s_cmp_lg_u32 s3, 0
	s_add_co_ci_u32 s39, s39, s43
	s_mov_b32 s43, s7
	s_mul_u64 s[40:41], s[40:41], s[38:39]
	s_delay_alu instid0(SALU_CYCLE_1)
	s_mul_hi_u32 s47, s38, s41
	s_mul_i32 s46, s38, s41
	s_mul_hi_u32 s44, s38, s40
	s_mul_i32 s25, s39, s40
	s_add_nc_u64 s[44:45], s[44:45], s[46:47]
	s_mul_hi_u32 s3, s39, s40
	s_mul_hi_u32 s48, s39, s41
	s_add_co_u32 s25, s44, s25
	s_add_co_ci_u32 s42, s45, s3
	s_mul_i32 s40, s39, s41
	s_add_co_ci_u32 s41, s48, 0
	s_delay_alu instid0(SALU_CYCLE_1) | instskip(NEXT) | instid1(SALU_CYCLE_1)
	s_add_nc_u64 s[40:41], s[42:43], s[40:41]
	s_add_co_u32 s38, s38, s40
	s_cselect_b32 s3, -1, 0
	v_mul_hi_u32 v34, v8, s38
	s_cmp_lg_u32 s3, 0
	s_add_co_ci_u32 s42, s39, s41
	s_and_b64 s[40:41], s[38:39], s[22:23]
	v_mul_u64_e32 v[22:23], s[42:43], v[8:9]
	v_mul_u64_e32 v[4:5], s[40:41], v[24:25]
	;; [unrolled: 1-line block ×3, first 2 shown]
	s_delay_alu instid0(VALU_DEP_3) | instskip(NEXT) | instid1(VALU_DEP_1)
	v_add_nc_u64_e32 v[22:23], v[34:35], v[22:23]
	v_add_co_u32 v3, vcc_lo, v22, v4
	s_delay_alu instid0(VALU_DEP_2) | instskip(NEXT) | instid1(VALU_DEP_4)
	v_add_co_ci_u32_e32 v34, vcc_lo, v23, v5, vcc_lo
	v_add_co_ci_u32_e32 v33, vcc_lo, 0, v33, vcc_lo
	s_delay_alu instid0(VALU_DEP_1) | instskip(NEXT) | instid1(VALU_DEP_1)
	v_add_nc_u64_e32 v[4:5], v[34:35], v[32:33]
	v_mul_u64_e32 v[22:23], s[4:5], v[4:5]
	s_delay_alu instid0(VALU_DEP_1) | instskip(NEXT) | instid1(VALU_DEP_2)
	v_sub_nc_u32_e32 v3, v24, v23
	v_sub_co_u32 v7, vcc_lo, v8, v22
	s_delay_alu instid0(VALU_DEP_1) | instskip(NEXT) | instid1(VALU_DEP_3)
	v_sub_co_ci_u32_e64 v15, null, v24, v23, vcc_lo
	v_subrev_co_ci_u32_e64 v3, null, s5, v3, vcc_lo
	s_delay_alu instid0(VALU_DEP_3) | instskip(SKIP_1) | instid1(VALU_DEP_3)
	v_sub_co_u32 v8, s3, v7, s4
	v_add_nc_u64_e32 v[22:23], 1, v[4:5]
	v_subrev_co_ci_u32_e64 v3, null, 0, v3, s3
	s_delay_alu instid0(VALU_DEP_3) | instskip(SKIP_1) | instid1(VALU_DEP_3)
	v_cmp_le_u32_e32 vcc_lo, s4, v8
	v_cndmask_b32_e64 v8, 0, -1, vcc_lo
	v_cmp_le_u32_e32 vcc_lo, s5, v3
	v_cndmask_b32_e64 v9, 0, -1, vcc_lo
	;; [unrolled: 2-line block ×4, first 2 shown]
	v_cmp_eq_u32_e32 vcc_lo, s5, v3
	v_cndmask_b32_e32 v3, v9, v8, vcc_lo
	v_cmp_eq_u32_e32 vcc_lo, s5, v15
	v_add_nc_u64_e32 v[8:9], 2, v[4:5]
	v_cndmask_b32_e32 v7, v17, v7, vcc_lo
	s_delay_alu instid0(VALU_DEP_4) | instskip(NEXT) | instid1(VALU_DEP_3)
	v_cmp_ne_u32_e32 vcc_lo, 0, v3
	v_cndmask_b32_e32 v3, v23, v9, vcc_lo
	s_delay_alu instid0(VALU_DEP_3) | instskip(SKIP_1) | instid1(VALU_DEP_2)
	v_cmp_ne_u32_e64 s3, 0, v7
	v_dual_cndmask_b32 v7, v22, v8, vcc_lo :: v_dual_bitop2_b32 v6, s24, v6 bitop3:0x14
	v_cndmask_b32_e64 v3, v5, v3, s3
	s_delay_alu instid0(VALU_DEP_2) | instskip(NEXT) | instid1(VALU_DEP_2)
	v_dual_cndmask_b32 v4, v4, v7, s3 :: v_dual_mov_b32 v7, v6
	v_xor_b32_e32 v5, v3, v6
	s_delay_alu instid0(VALU_DEP_2) | instskip(NEXT) | instid1(VALU_DEP_1)
	v_xor_b32_e32 v4, v4, v6
	v_sub_nc_u64_e32 v[22:23], v[4:5], v[6:7]
                                        ; implicit-def: $vgpr4_vgpr5
.LBB1_76:                               ;   in Loop: Header=BB1_9 Depth=2
	s_and_not1_saveexec_b32 s3, s37
	s_cbranch_execz .LBB1_78
; %bb.77:                               ;   in Loop: Header=BB1_9 Depth=2
	v_cvt_f32_u32_e32 v3, s16
	s_delay_alu instid0(VALU_DEP_1) | instskip(SKIP_1) | instid1(TRANS32_DEP_1)
	v_rcp_iflag_f32_e32 v3, v3
	v_nop
	v_mul_f32_e32 v3, 0x4f7ffffe, v3
	s_delay_alu instid0(VALU_DEP_1) | instskip(NEXT) | instid1(VALU_DEP_1)
	v_cvt_u32_f32_e32 v3, v3
	v_mul_lo_u32 v5, s33, v3
	s_delay_alu instid0(VALU_DEP_1) | instskip(NEXT) | instid1(VALU_DEP_1)
	v_mul_hi_u32 v5, v3, v5
	v_add_nc_u32_e32 v3, v3, v5
	s_delay_alu instid0(VALU_DEP_1) | instskip(NEXT) | instid1(VALU_DEP_1)
	v_mul_hi_u32 v3, v4, v3
	v_mul_lo_u32 v5, v3, s16
	s_delay_alu instid0(VALU_DEP_1) | instskip(NEXT) | instid1(VALU_DEP_1)
	v_dual_sub_nc_u32 v4, v4, v5 :: v_dual_add_nc_u32 v5, 1, v3
	v_subrev_nc_u32_e32 v6, s16, v4
	v_cmp_le_u32_e32 vcc_lo, s16, v4
	s_delay_alu instid0(VALU_DEP_2) | instskip(NEXT) | instid1(VALU_DEP_1)
	v_dual_cndmask_b32 v4, v4, v6 :: v_dual_cndmask_b32 v3, v3, v5
	v_cmp_le_u32_e32 vcc_lo, s16, v4
	s_delay_alu instid0(VALU_DEP_2) | instskip(NEXT) | instid1(VALU_DEP_1)
	v_add_nc_u32_e32 v5, 1, v3
	v_cndmask_b32_e32 v22, v3, v5, vcc_lo
.LBB1_78:                               ;   in Loop: Header=BB1_9 Depth=2
	s_or_b32 exec_lo, exec_lo, s3
.LBB1_79:                               ;   in Loop: Header=BB1_9 Depth=2
	s_delay_alu instid0(SALU_CYCLE_1)
	s_or_b32 exec_lo, exec_lo, s36
	s_and_saveexec_b32 s3, s27
; %bb.80:                               ;   in Loop: Header=BB1_9 Depth=2
	s_delay_alu instid0(VALU_DEP_1)
	v_lshl_add_u32 v3, v22, 2, v29
	ds_add_u32 v3, v1
; %bb.81:                               ;   in Loop: Header=BB1_9 Depth=2
	s_or_b32 exec_lo, exec_lo, s3
	s_delay_alu instid0(SALU_CYCLE_1)
	s_or_b32 exec_lo, exec_lo, s26
	s_and_saveexec_b32 s3, s2
	s_cbranch_execz .LBB1_89
.LBB1_82:                               ;   in Loop: Header=BB1_9 Depth=2
	s_wait_loadcnt 0x0
	v_cmp_le_i64_e32 vcc_lo, s[12:13], v[10:11]
	v_cmp_gt_i64_e64 s2, s[14:15], v[10:11]
	s_and_b32 s26, vcc_lo, s2
	s_delay_alu instid0(SALU_CYCLE_1)
	s_and_saveexec_b32 s27, s26
	s_cbranch_execz .LBB1_88
; %bb.83:                               ;   in Loop: Header=BB1_9 Depth=2
	v_sub_nc_u64_e64 v[4:5], v[10:11], s[12:13]
                                        ; implicit-def: $vgpr22_vgpr23
	s_mov_b32 s2, exec_lo
	s_delay_alu instid0(VALU_DEP_1) | instskip(NEXT) | instid1(VALU_DEP_1)
	v_or_b32_e32 v3, s17, v5
	v_cmpx_ne_u64_e32 0, v[2:3]
	s_xor_b32 s36, exec_lo, s2
	s_cbranch_execz .LBB1_85
; %bb.84:                               ;   in Loop: Header=BB1_9 Depth=2
	s_mov_b32 s25, s24
	s_mov_b32 s43, s7
	s_add_nc_u64 s[4:5], s[16:17], s[24:25]
	s_mov_b32 s47, s7
	s_xor_b64 s[4:5], s[4:5], s[24:25]
	v_dual_mov_b32 v9, v2 :: v_dual_ashrrev_i32 v6, 31, v5
	s_cvt_f32_u32 s2, s4
	s_cvt_f32_u32 s25, s5
	s_sub_nc_u64 s[40:41], 0, s[4:5]
	s_delay_alu instid0(VALU_DEP_1) | instskip(NEXT) | instid1(SALU_CYCLE_1)
	v_dual_mov_b32 v7, v6 :: v_dual_mov_b32 v33, v2
	s_fmamk_f32 s2, s25, 0x4f800000, s2
	s_delay_alu instid0(VALU_DEP_1) | instskip(NEXT) | instid1(SALU_CYCLE_2)
	v_add_nc_u64_e32 v[4:5], v[4:5], v[6:7]
	v_s_rcp_f32 s2, s2
	s_delay_alu instid0(VALU_DEP_1) | instskip(NEXT) | instid1(VALU_DEP_2)
	v_dual_mov_b32 v23, v2 :: v_dual_bitop2_b32 v22, v5, v6 bitop3:0x14
	v_xor_b32_e32 v8, v4, v6
	s_delay_alu instid0(TRANS32_DEP_1) | instskip(SKIP_1) | instid1(SALU_CYCLE_2)
	s_mul_f32 s2, s2, 0x5f7ffffc
	v_xor_b32_e32 v6, s24, v6
	s_mul_f32 s25, s2, 0x2f800000
	s_delay_alu instid0(SALU_CYCLE_3) | instskip(NEXT) | instid1(SALU_CYCLE_3)
	s_trunc_f32 s25, s25
	s_fmamk_f32 s2, s25, 0xcf800000, s2
	s_cvt_u32_f32 s39, s25
	s_delay_alu instid0(SALU_CYCLE_2) | instskip(NEXT) | instid1(SALU_CYCLE_3)
	s_cvt_u32_f32 s38, s2
	s_mul_u64 s[44:45], s[40:41], s[38:39]
	s_delay_alu instid0(SALU_CYCLE_1)
	s_mul_hi_u32 s49, s38, s45
	s_mul_i32 s48, s38, s45
	s_mul_hi_u32 s42, s38, s44
	s_mul_i32 s25, s39, s44
	s_add_nc_u64 s[42:43], s[42:43], s[48:49]
	s_mul_hi_u32 s2, s39, s44
	s_mul_hi_u32 s37, s39, s45
	s_add_co_u32 s25, s42, s25
	s_add_co_ci_u32 s46, s43, s2
	s_mul_i32 s44, s39, s45
	s_add_co_ci_u32 s45, s37, 0
	s_delay_alu instid0(SALU_CYCLE_1) | instskip(SKIP_3) | instid1(SALU_CYCLE_1)
	s_add_nc_u64 s[42:43], s[46:47], s[44:45]
	s_mov_b32 s45, s7
	s_add_co_u32 s38, s38, s42
	s_cselect_b32 s2, -1, 0
	s_cmp_lg_u32 s2, 0
	s_add_co_ci_u32 s39, s39, s43
	s_mov_b32 s43, s7
	s_mul_u64 s[40:41], s[40:41], s[38:39]
	s_delay_alu instid0(SALU_CYCLE_1)
	s_mul_hi_u32 s47, s38, s41
	s_mul_i32 s46, s38, s41
	s_mul_hi_u32 s44, s38, s40
	s_mul_i32 s25, s39, s40
	s_add_nc_u64 s[44:45], s[44:45], s[46:47]
	s_mul_hi_u32 s2, s39, s40
	s_mul_hi_u32 s37, s39, s41
	s_add_co_u32 s25, s44, s25
	s_add_co_ci_u32 s42, s45, s2
	s_mul_i32 s40, s39, s41
	s_add_co_ci_u32 s41, s37, 0
	s_delay_alu instid0(SALU_CYCLE_1) | instskip(NEXT) | instid1(SALU_CYCLE_1)
	s_add_nc_u64 s[40:41], s[42:43], s[40:41]
	s_add_co_u32 s2, s38, s40
	s_cselect_b32 s25, -1, 0
	v_mul_hi_u32 v32, v8, s2
	s_cmp_lg_u32 s25, 0
	s_add_co_ci_u32 s42, s39, s41
	s_and_b64 s[38:39], s[2:3], s[22:23]
	v_mul_u64_e32 v[10:11], s[42:43], v[8:9]
	v_mul_u64_e32 v[4:5], s[38:39], v[22:23]
	;; [unrolled: 1-line block ×3, first 2 shown]
	s_delay_alu instid0(VALU_DEP_3) | instskip(NEXT) | instid1(VALU_DEP_1)
	v_add_nc_u64_e32 v[10:11], v[32:33], v[10:11]
	v_add_co_u32 v3, vcc_lo, v10, v4
	s_delay_alu instid0(VALU_DEP_2) | instskip(NEXT) | instid1(VALU_DEP_4)
	v_add_co_ci_u32_e32 v32, vcc_lo, v11, v5, vcc_lo
	v_add_co_ci_u32_e32 v25, vcc_lo, 0, v25, vcc_lo
	s_delay_alu instid0(VALU_DEP_1) | instskip(NEXT) | instid1(VALU_DEP_1)
	v_add_nc_u64_e32 v[4:5], v[32:33], v[24:25]
	v_mul_u64_e32 v[10:11], s[4:5], v[4:5]
	s_delay_alu instid0(VALU_DEP_1) | instskip(NEXT) | instid1(VALU_DEP_2)
	v_sub_nc_u32_e32 v3, v22, v11
	v_sub_co_u32 v7, vcc_lo, v8, v10
	s_delay_alu instid0(VALU_DEP_1) | instskip(NEXT) | instid1(VALU_DEP_3)
	v_sub_co_ci_u32_e64 v15, null, v22, v11, vcc_lo
	v_subrev_co_ci_u32_e64 v3, null, s5, v3, vcc_lo
	s_delay_alu instid0(VALU_DEP_3) | instskip(SKIP_1) | instid1(VALU_DEP_3)
	v_sub_co_u32 v8, s2, v7, s4
	v_add_nc_u64_e32 v[10:11], 1, v[4:5]
	v_subrev_co_ci_u32_e64 v3, null, 0, v3, s2
	s_delay_alu instid0(VALU_DEP_3) | instskip(SKIP_1) | instid1(VALU_DEP_3)
	v_cmp_le_u32_e32 vcc_lo, s4, v8
	v_cndmask_b32_e64 v8, 0, -1, vcc_lo
	v_cmp_le_u32_e32 vcc_lo, s5, v3
	v_cndmask_b32_e64 v9, 0, -1, vcc_lo
	v_cmp_le_u32_e32 vcc_lo, s4, v7
	v_cndmask_b32_e64 v7, 0, -1, vcc_lo
	v_cmp_le_u32_e32 vcc_lo, s5, v15
	v_cndmask_b32_e64 v17, 0, -1, vcc_lo
	v_cmp_eq_u32_e32 vcc_lo, s5, v3
	v_cndmask_b32_e32 v3, v9, v8, vcc_lo
	v_cmp_eq_u32_e32 vcc_lo, s5, v15
	v_add_nc_u64_e32 v[8:9], 2, v[4:5]
	v_cndmask_b32_e32 v7, v17, v7, vcc_lo
	s_delay_alu instid0(VALU_DEP_4) | instskip(NEXT) | instid1(VALU_DEP_3)
	v_cmp_ne_u32_e32 vcc_lo, 0, v3
	v_cndmask_b32_e32 v3, v11, v9, vcc_lo
	s_delay_alu instid0(VALU_DEP_3) | instskip(NEXT) | instid1(VALU_DEP_1)
	v_cmp_ne_u32_e64 s2, 0, v7
	v_dual_cndmask_b32 v7, v10, v8, vcc_lo :: v_dual_cndmask_b32 v3, v5, v3, s2
	s_delay_alu instid0(VALU_DEP_1) | instskip(NEXT) | instid1(VALU_DEP_2)
	v_dual_cndmask_b32 v4, v4, v7, s2 :: v_dual_mov_b32 v7, v6
	v_xor_b32_e32 v5, v3, v6
	s_delay_alu instid0(VALU_DEP_2) | instskip(NEXT) | instid1(VALU_DEP_1)
	v_xor_b32_e32 v4, v4, v6
	v_sub_nc_u64_e32 v[22:23], v[4:5], v[6:7]
                                        ; implicit-def: $vgpr4_vgpr5
.LBB1_85:                               ;   in Loop: Header=BB1_9 Depth=2
	s_and_not1_saveexec_b32 s2, s36
	s_cbranch_execz .LBB1_87
; %bb.86:                               ;   in Loop: Header=BB1_9 Depth=2
	v_cvt_f32_u32_e32 v3, s16
	s_delay_alu instid0(VALU_DEP_1) | instskip(SKIP_1) | instid1(TRANS32_DEP_1)
	v_rcp_iflag_f32_e32 v3, v3
	v_nop
	v_mul_f32_e32 v3, 0x4f7ffffe, v3
	s_delay_alu instid0(VALU_DEP_1) | instskip(NEXT) | instid1(VALU_DEP_1)
	v_cvt_u32_f32_e32 v3, v3
	v_mul_lo_u32 v5, s33, v3
	s_delay_alu instid0(VALU_DEP_1) | instskip(NEXT) | instid1(VALU_DEP_1)
	v_mul_hi_u32 v5, v3, v5
	v_add_nc_u32_e32 v3, v3, v5
	s_delay_alu instid0(VALU_DEP_1) | instskip(NEXT) | instid1(VALU_DEP_1)
	v_mul_hi_u32 v3, v4, v3
	v_mul_lo_u32 v5, v3, s16
	s_delay_alu instid0(VALU_DEP_1) | instskip(NEXT) | instid1(VALU_DEP_1)
	v_dual_sub_nc_u32 v4, v4, v5 :: v_dual_add_nc_u32 v5, 1, v3
	v_subrev_nc_u32_e32 v6, s16, v4
	v_cmp_le_u32_e32 vcc_lo, s16, v4
	s_delay_alu instid0(VALU_DEP_2) | instskip(NEXT) | instid1(VALU_DEP_1)
	v_dual_cndmask_b32 v4, v4, v6 :: v_dual_cndmask_b32 v3, v3, v5
	v_cmp_le_u32_e32 vcc_lo, s16, v4
	s_delay_alu instid0(VALU_DEP_2) | instskip(NEXT) | instid1(VALU_DEP_1)
	v_add_nc_u32_e32 v5, 1, v3
	v_cndmask_b32_e32 v22, v3, v5, vcc_lo
.LBB1_87:                               ;   in Loop: Header=BB1_9 Depth=2
	s_or_b32 exec_lo, exec_lo, s2
.LBB1_88:                               ;   in Loop: Header=BB1_9 Depth=2
	s_delay_alu instid0(SALU_CYCLE_1) | instskip(NEXT) | instid1(SALU_CYCLE_1)
	s_or_b32 exec_lo, exec_lo, s27
	s_and_not1_b32 s2, s35, exec_lo
	s_and_b32 s4, s26, exec_lo
	s_delay_alu instid0(SALU_CYCLE_1)
	s_or_b32 s35, s2, s4
.LBB1_89:                               ;   in Loop: Header=BB1_9 Depth=2
	s_or_b32 exec_lo, exec_lo, s3
	s_wait_loadcnt 0x0
	v_mov_b32_e32 v10, v22
	s_and_saveexec_b32 s2, s35
	s_cbranch_execz .LBB1_8
.LBB1_90:                               ;   in Loop: Header=BB1_9 Depth=2
	s_delay_alu instid0(VALU_DEP_1)
	v_lshl_add_u32 v3, v10, 2, v29
	ds_add_u32 v3, v1
	s_branch .LBB1_8
.LBB1_91:
	s_wait_dscnt 0x0
	s_barrier_signal -1
	s_barrier_wait -1
	s_mov_b32 s2, exec_lo
	v_cmpx_gt_u32_e64 s18, v0
	s_cbranch_execz .LBB1_103
; %bb.92:
	s_wait_xcnt 0x0
	s_load_b64 s[0:1], s[0:1], 0x20
	s_cmp_gt_u32 s19, 1
	v_mov_b32_e32 v3, 0
	s_cselect_b32 s3, -1, 0
	s_cmp_eq_u32 s18, 1
	s_mov_b32 s5, 0
	s_cselect_b32 s4, -1, 0
	s_and_b32 s2, s19, -2
	s_and_b32 s3, s3, s4
	s_cmp_lg_u32 s19, s2
	s_cselect_b32 s4, -1, 0
	s_lshl_b32 s6, s18, 2
	s_branch .LBB1_94
.LBB1_93:                               ;   in Loop: Header=BB1_94 Depth=1
	s_wait_xcnt 0x0
	s_or_b32 exec_lo, exec_lo, s7
	v_add_nc_u32_e32 v0, 0x100, v0
	v_add_nc_u32_e32 v13, 0x400, v13
	s_delay_alu instid0(VALU_DEP_2) | instskip(SKIP_1) | instid1(SALU_CYCLE_1)
	v_cmp_le_u32_e32 vcc_lo, s18, v0
	s_or_b32 s5, vcc_lo, s5
	s_and_not1_b32 exec_lo, exec_lo, s5
	s_cbranch_execz .LBB1_103
.LBB1_94:                               ; =>This Loop Header: Depth=1
                                        ;     Child Loop BB1_96 Depth 2
                                        ;     Child Loop BB1_100 Depth 2
	v_mov_b32_e32 v2, 0
	s_and_not1_b32 vcc_lo, exec_lo, s3
	s_mov_b32 s8, 0
	s_mov_b32 s7, -1
	s_cbranch_vccnz .LBB1_98
; %bb.95:                               ;   in Loop: Header=BB1_94 Depth=1
	v_dual_mov_b32 v1, 0 :: v_dual_mov_b32 v2, v13
	v_mov_b32_e32 v4, 0
	s_mov_b32 s7, s2
.LBB1_96:                               ;   Parent Loop BB1_94 Depth=1
                                        ; =>  This Inner Loop Header: Depth=2
	ds_load_2addr_b32 v[6:7], v2 offset1:1
	v_add_nc_u32_e32 v2, 8, v2
	s_add_co_i32 s7, s7, -2
	s_delay_alu instid0(SALU_CYCLE_1)
	s_cmp_lg_u32 s7, 0
	s_wait_dscnt 0x0
	v_dual_add_nc_u32 v4, v7, v4 :: v_dual_add_nc_u32 v1, v6, v1
	s_cbranch_scc1 .LBB1_96
; %bb.97:                               ;   in Loop: Header=BB1_94 Depth=1
	s_delay_alu instid0(VALU_DEP_1)
	v_add_nc_u32_e32 v2, v1, v4
	s_mov_b32 s8, s2
	s_mov_b32 s7, s4
.LBB1_98:                               ;   in Loop: Header=BB1_94 Depth=1
	s_delay_alu instid0(SALU_CYCLE_1)
	s_and_b32 vcc_lo, exec_lo, s7
	s_cbranch_vccz .LBB1_101
; %bb.99:                               ;   in Loop: Header=BB1_94 Depth=1
	s_sub_co_i32 s7, s19, s8
	s_mul_i32 s8, s6, s8
.LBB1_100:                              ;   Parent Loop BB1_94 Depth=1
                                        ; =>  This Inner Loop Header: Depth=2
	s_delay_alu instid0(SALU_CYCLE_1)
	v_add_nc_u32_e32 v1, s8, v13
	s_add_co_i32 s7, s7, -1
	s_add_co_i32 s8, s8, s6
	s_cmp_eq_u32 s7, 0
	ds_load_b32 v1, v1
	s_wait_dscnt 0x0
	v_add_nc_u32_e32 v2, v1, v2
	s_cbranch_scc0 .LBB1_100
.LBB1_101:                              ;   in Loop: Header=BB1_94 Depth=1
	s_mov_b32 s7, exec_lo
	s_delay_alu instid0(VALU_DEP_1)
	v_cmpx_ne_u32_e32 0, v2
	s_cbranch_execz .LBB1_93
; %bb.102:                              ;   in Loop: Header=BB1_94 Depth=1
	s_wait_xcnt 0x0
	s_wait_kmcnt 0x0
	global_atomic_add_u64 v0, v[2:3], s[0:1] scale_offset scope:SCOPE_DEV
	s_branch .LBB1_93
.LBB1_103:
	s_endpgm
	.section	.rodata,"a",@progbits
	.p2align	6, 0x0
	.amdhsa_kernel _ZN7rocprim6detail23histogram_shared_kernelINS0_24wrapped_histogram_configINS_14default_configElLj1ELj1EEELj1ELj1EPlyNS0_18sample_to_bin_evenIlvEEEEvT2_jjjjjNS0_11fixed_arrayIPT3_XT1_EEENS9_IT4_XT1_EEENS9_IjXT1_EEE
		.amdhsa_group_segment_fixed_size 0
		.amdhsa_private_segment_fixed_size 0
		.amdhsa_kernarg_size 336
		.amdhsa_user_sgpr_count 2
		.amdhsa_user_sgpr_dispatch_ptr 0
		.amdhsa_user_sgpr_queue_ptr 0
		.amdhsa_user_sgpr_kernarg_segment_ptr 1
		.amdhsa_user_sgpr_dispatch_id 0
		.amdhsa_user_sgpr_kernarg_preload_length 0
		.amdhsa_user_sgpr_kernarg_preload_offset 0
		.amdhsa_user_sgpr_private_segment_size 0
		.amdhsa_wavefront_size32 1
		.amdhsa_uses_dynamic_stack 0
		.amdhsa_enable_private_segment 0
		.amdhsa_system_sgpr_workgroup_id_x 1
		.amdhsa_system_sgpr_workgroup_id_y 1
		.amdhsa_system_sgpr_workgroup_id_z 0
		.amdhsa_system_sgpr_workgroup_info 0
		.amdhsa_system_vgpr_workitem_id 0
		.amdhsa_next_free_vgpr 42
		.amdhsa_next_free_sgpr 53
		.amdhsa_named_barrier_count 0
		.amdhsa_reserve_vcc 1
		.amdhsa_float_round_mode_32 0
		.amdhsa_float_round_mode_16_64 0
		.amdhsa_float_denorm_mode_32 3
		.amdhsa_float_denorm_mode_16_64 3
		.amdhsa_fp16_overflow 0
		.amdhsa_memory_ordered 1
		.amdhsa_forward_progress 1
		.amdhsa_inst_pref_size 63
		.amdhsa_round_robin_scheduling 0
		.amdhsa_exception_fp_ieee_invalid_op 0
		.amdhsa_exception_fp_denorm_src 0
		.amdhsa_exception_fp_ieee_div_zero 0
		.amdhsa_exception_fp_ieee_overflow 0
		.amdhsa_exception_fp_ieee_underflow 0
		.amdhsa_exception_fp_ieee_inexact 0
		.amdhsa_exception_int_div_zero 0
	.end_amdhsa_kernel
	.section	.text._ZN7rocprim6detail23histogram_shared_kernelINS0_24wrapped_histogram_configINS_14default_configElLj1ELj1EEELj1ELj1EPlyNS0_18sample_to_bin_evenIlvEEEEvT2_jjjjjNS0_11fixed_arrayIPT3_XT1_EEENS9_IT4_XT1_EEENS9_IjXT1_EEE,"axG",@progbits,_ZN7rocprim6detail23histogram_shared_kernelINS0_24wrapped_histogram_configINS_14default_configElLj1ELj1EEELj1ELj1EPlyNS0_18sample_to_bin_evenIlvEEEEvT2_jjjjjNS0_11fixed_arrayIPT3_XT1_EEENS9_IT4_XT1_EEENS9_IjXT1_EEE,comdat
.Lfunc_end1:
	.size	_ZN7rocprim6detail23histogram_shared_kernelINS0_24wrapped_histogram_configINS_14default_configElLj1ELj1EEELj1ELj1EPlyNS0_18sample_to_bin_evenIlvEEEEvT2_jjjjjNS0_11fixed_arrayIPT3_XT1_EEENS9_IT4_XT1_EEENS9_IjXT1_EEE, .Lfunc_end1-_ZN7rocprim6detail23histogram_shared_kernelINS0_24wrapped_histogram_configINS_14default_configElLj1ELj1EEELj1ELj1EPlyNS0_18sample_to_bin_evenIlvEEEEvT2_jjjjjNS0_11fixed_arrayIPT3_XT1_EEENS9_IT4_XT1_EEENS9_IjXT1_EEE
                                        ; -- End function
	.set _ZN7rocprim6detail23histogram_shared_kernelINS0_24wrapped_histogram_configINS_14default_configElLj1ELj1EEELj1ELj1EPlyNS0_18sample_to_bin_evenIlvEEEEvT2_jjjjjNS0_11fixed_arrayIPT3_XT1_EEENS9_IT4_XT1_EEENS9_IjXT1_EEE.num_vgpr, 42
	.set _ZN7rocprim6detail23histogram_shared_kernelINS0_24wrapped_histogram_configINS_14default_configElLj1ELj1EEELj1ELj1EPlyNS0_18sample_to_bin_evenIlvEEEEvT2_jjjjjNS0_11fixed_arrayIPT3_XT1_EEENS9_IT4_XT1_EEENS9_IjXT1_EEE.num_agpr, 0
	.set _ZN7rocprim6detail23histogram_shared_kernelINS0_24wrapped_histogram_configINS_14default_configElLj1ELj1EEELj1ELj1EPlyNS0_18sample_to_bin_evenIlvEEEEvT2_jjjjjNS0_11fixed_arrayIPT3_XT1_EEENS9_IT4_XT1_EEENS9_IjXT1_EEE.numbered_sgpr, 53
	.set _ZN7rocprim6detail23histogram_shared_kernelINS0_24wrapped_histogram_configINS_14default_configElLj1ELj1EEELj1ELj1EPlyNS0_18sample_to_bin_evenIlvEEEEvT2_jjjjjNS0_11fixed_arrayIPT3_XT1_EEENS9_IT4_XT1_EEENS9_IjXT1_EEE.num_named_barrier, 0
	.set _ZN7rocprim6detail23histogram_shared_kernelINS0_24wrapped_histogram_configINS_14default_configElLj1ELj1EEELj1ELj1EPlyNS0_18sample_to_bin_evenIlvEEEEvT2_jjjjjNS0_11fixed_arrayIPT3_XT1_EEENS9_IT4_XT1_EEENS9_IjXT1_EEE.private_seg_size, 0
	.set _ZN7rocprim6detail23histogram_shared_kernelINS0_24wrapped_histogram_configINS_14default_configElLj1ELj1EEELj1ELj1EPlyNS0_18sample_to_bin_evenIlvEEEEvT2_jjjjjNS0_11fixed_arrayIPT3_XT1_EEENS9_IT4_XT1_EEENS9_IjXT1_EEE.uses_vcc, 1
	.set _ZN7rocprim6detail23histogram_shared_kernelINS0_24wrapped_histogram_configINS_14default_configElLj1ELj1EEELj1ELj1EPlyNS0_18sample_to_bin_evenIlvEEEEvT2_jjjjjNS0_11fixed_arrayIPT3_XT1_EEENS9_IT4_XT1_EEENS9_IjXT1_EEE.uses_flat_scratch, 0
	.set _ZN7rocprim6detail23histogram_shared_kernelINS0_24wrapped_histogram_configINS_14default_configElLj1ELj1EEELj1ELj1EPlyNS0_18sample_to_bin_evenIlvEEEEvT2_jjjjjNS0_11fixed_arrayIPT3_XT1_EEENS9_IT4_XT1_EEENS9_IjXT1_EEE.has_dyn_sized_stack, 0
	.set _ZN7rocprim6detail23histogram_shared_kernelINS0_24wrapped_histogram_configINS_14default_configElLj1ELj1EEELj1ELj1EPlyNS0_18sample_to_bin_evenIlvEEEEvT2_jjjjjNS0_11fixed_arrayIPT3_XT1_EEENS9_IT4_XT1_EEENS9_IjXT1_EEE.has_recursion, 0
	.set _ZN7rocprim6detail23histogram_shared_kernelINS0_24wrapped_histogram_configINS_14default_configElLj1ELj1EEELj1ELj1EPlyNS0_18sample_to_bin_evenIlvEEEEvT2_jjjjjNS0_11fixed_arrayIPT3_XT1_EEENS9_IT4_XT1_EEENS9_IjXT1_EEE.has_indirect_call, 0
	.section	.AMDGPU.csdata,"",@progbits
; Kernel info:
; codeLenInByte = 7960
; TotalNumSgprs: 55
; NumVgprs: 42
; ScratchSize: 0
; MemoryBound: 1
; FloatMode: 240
; IeeeMode: 1
; LDSByteSize: 0 bytes/workgroup (compile time only)
; SGPRBlocks: 0
; VGPRBlocks: 2
; NumSGPRsForWavesPerEU: 55
; NumVGPRsForWavesPerEU: 42
; NamedBarCnt: 0
; Occupancy: 16
; WaveLimiterHint : 1
; COMPUTE_PGM_RSRC2:SCRATCH_EN: 0
; COMPUTE_PGM_RSRC2:USER_SGPR: 2
; COMPUTE_PGM_RSRC2:TRAP_HANDLER: 0
; COMPUTE_PGM_RSRC2:TGID_X_EN: 1
; COMPUTE_PGM_RSRC2:TGID_Y_EN: 1
; COMPUTE_PGM_RSRC2:TGID_Z_EN: 0
; COMPUTE_PGM_RSRC2:TIDIG_COMP_CNT: 0
	.section	.text._ZN7rocprim6detail23histogram_global_kernelINS0_24wrapped_histogram_configINS_14default_configElLj1ELj1EEELj1ELj1EPlyNS0_18sample_to_bin_evenIlvEEEEvT2_jjNS0_11fixed_arrayIPT3_XT1_EEENS9_IT4_XT1_EEENS9_IjXT1_EEE,"axG",@progbits,_ZN7rocprim6detail23histogram_global_kernelINS0_24wrapped_histogram_configINS_14default_configElLj1ELj1EEELj1ELj1EPlyNS0_18sample_to_bin_evenIlvEEEEvT2_jjNS0_11fixed_arrayIPT3_XT1_EEENS9_IT4_XT1_EEENS9_IjXT1_EEE,comdat
	.protected	_ZN7rocprim6detail23histogram_global_kernelINS0_24wrapped_histogram_configINS_14default_configElLj1ELj1EEELj1ELj1EPlyNS0_18sample_to_bin_evenIlvEEEEvT2_jjNS0_11fixed_arrayIPT3_XT1_EEENS9_IT4_XT1_EEENS9_IjXT1_EEE ; -- Begin function _ZN7rocprim6detail23histogram_global_kernelINS0_24wrapped_histogram_configINS_14default_configElLj1ELj1EEELj1ELj1EPlyNS0_18sample_to_bin_evenIlvEEEEvT2_jjNS0_11fixed_arrayIPT3_XT1_EEENS9_IT4_XT1_EEENS9_IjXT1_EEE
	.globl	_ZN7rocprim6detail23histogram_global_kernelINS0_24wrapped_histogram_configINS_14default_configElLj1ELj1EEELj1ELj1EPlyNS0_18sample_to_bin_evenIlvEEEEvT2_jjNS0_11fixed_arrayIPT3_XT1_EEENS9_IT4_XT1_EEENS9_IjXT1_EEE
	.p2align	8
	.type	_ZN7rocprim6detail23histogram_global_kernelINS0_24wrapped_histogram_configINS_14default_configElLj1ELj1EEELj1ELj1EPlyNS0_18sample_to_bin_evenIlvEEEEvT2_jjNS0_11fixed_arrayIPT3_XT1_EEENS9_IT4_XT1_EEENS9_IjXT1_EEE,@function
_ZN7rocprim6detail23histogram_global_kernelINS0_24wrapped_histogram_configINS_14default_configElLj1ELj1EEELj1ELj1EPlyNS0_18sample_to_bin_evenIlvEEEEvT2_jjNS0_11fixed_arrayIPT3_XT1_EEENS9_IT4_XT1_EEENS9_IjXT1_EEE: ; @_ZN7rocprim6detail23histogram_global_kernelINS0_24wrapped_histogram_configINS_14default_configElLj1ELj1EEELj1ELj1EPlyNS0_18sample_to_bin_evenIlvEEEEvT2_jjNS0_11fixed_arrayIPT3_XT1_EEENS9_IT4_XT1_EEENS9_IjXT1_EEE
; %bb.0:
	s_clause 0x2
	s_load_b128 s[8:11], s[0:1], 0x0
	s_load_b128 s[4:7], s[0:1], 0x20
	s_load_b64 s[2:3], s[0:1], 0x30
	s_bfe_u32 s13, ttmp6, 0x4000c
	s_bfe_u32 s14, ttmp6, 0x40010
	s_add_co_i32 s13, s13, 1
	s_add_co_i32 s14, s14, 1
	s_and_b32 s12, ttmp6, 15
	s_bfe_u32 s15, ttmp6, 0x40004
	s_mul_i32 s13, ttmp9, s13
	s_mul_i32 s14, ttmp7, s14
	s_getreg_b32 s16, hwreg(HW_REG_IB_STS2, 6, 4)
	s_add_co_i32 s12, s12, s13
	s_add_co_i32 s15, s15, s14
	s_cmp_eq_u32 s16, 0
	s_mov_b32 s13, 0
	s_cselect_b32 s12, ttmp9, s12
	s_cselect_b32 s14, ttmp7, s15
	s_lshl_b32 s15, s12, 10
	v_lshlrev_b32_e32 v10, 2, v0
	s_wait_kmcnt 0x0
	s_mul_i32 s11, s11, s14
	s_movk_i32 s14, 0x400
	s_add_co_i32 s12, s11, s15
	s_add_co_i32 s11, s15, 0x400
	s_lshl_b64 s[16:17], s[12:13], 3
	s_cmp_gt_u32 s11, s10
	s_add_nc_u64 s[8:9], s[8:9], s[16:17]
	s_cbranch_scc1 .LBB2_2
; %bb.1:
	s_clause 0x3
	global_load_b64 v[2:3], v0, s[8:9] scale_offset
	global_load_b64 v[4:5], v0, s[8:9] offset:2048 scale_offset
	global_load_b64 v[6:7], v0, s[8:9] offset:4096 scale_offset
	;; [unrolled: 1-line block ×3, first 2 shown]
	v_lshlrev_b32_e32 v12, 2, v0
	s_and_not1_b32 vcc_lo, exec_lo, s13
	s_cbranch_vccz .LBB2_3
	s_branch .LBB2_12
.LBB2_2:
                                        ; implicit-def: $vgpr2_vgpr3
                                        ; implicit-def: $vgpr12
.LBB2_3:
	s_wait_loadcnt 0x3
	v_dual_mov_b32 v3, 0 :: v_dual_lshlrev_b32 v2, 5, v0
	s_sub_co_i32 s14, s10, s15
	s_wait_xcnt 0x0
	s_delay_alu instid0(VALU_DEP_1)
	v_add_nc_u64_e32 v[0:1], s[8:9], v[2:3]
	s_wait_loadcnt 0x2
	v_dual_mov_b32 v2, v3 :: v_dual_mov_b32 v4, v3
	s_wait_loadcnt 0x1
	v_dual_mov_b32 v5, v3 :: v_dual_mov_b32 v6, v3
	;; [unrolled: 2-line block ×3, first 2 shown]
	v_mov_b32_e32 v9, v3
	s_mov_b32 s8, exec_lo
	v_cmpx_gt_u32_e64 s14, v10
	s_cbranch_execz .LBB2_5
; %bb.4:
	global_load_b64 v[12:13], v[0:1], off
	v_dual_mov_b32 v14, v3 :: v_dual_mov_b32 v15, v3
	v_dual_mov_b32 v16, v3 :: v_dual_mov_b32 v17, v3
	;; [unrolled: 1-line block ×3, first 2 shown]
	s_wait_loadcnt 0x0
	v_mov_b64_e32 v[2:3], v[12:13]
	v_mov_b64_e32 v[4:5], v[14:15]
	;; [unrolled: 1-line block ×4, first 2 shown]
.LBB2_5:
	s_or_b32 exec_lo, exec_lo, s8
	v_or_b32_e32 v11, 1, v10
	s_mov_b32 s8, exec_lo
	s_delay_alu instid0(VALU_DEP_1)
	v_cmpx_gt_u32_e64 s14, v11
	s_cbranch_execz .LBB2_7
; %bb.6:
	global_load_b64 v[4:5], v[0:1], off offset:8
.LBB2_7:
	s_wait_xcnt 0x0
	s_or_b32 exec_lo, exec_lo, s8
	v_or_b32_e32 v11, 2, v10
	s_mov_b32 s8, exec_lo
	s_delay_alu instid0(VALU_DEP_1)
	v_cmpx_gt_u32_e64 s14, v11
	s_cbranch_execz .LBB2_9
; %bb.8:
	global_load_b64 v[6:7], v[0:1], off offset:16
.LBB2_9:
	s_wait_xcnt 0x0
	;; [unrolled: 10-line block ×3, first 2 shown]
	s_or_b32 exec_lo, exec_lo, s8
	v_mov_b32_e32 v12, v10
.LBB2_12:
	s_clause 0x1
	s_load_b32 s15, s[0:1], 0x38
	s_load_b64 s[8:9], s[0:1], 0x10
	s_wait_loadcnt 0x3
	v_cmp_le_i64_e32 vcc_lo, s[4:5], v[2:3]
	s_wait_xcnt 0x0
	v_cmp_gt_i64_e64 s0, s[6:7], v[2:3]
	s_wait_kmcnt 0x0
	s_cmp_lg_u32 s15, 0
	s_cselect_b32 s16, -1, 0
	s_and_b32 s0, vcc_lo, s0
	s_delay_alu instid0(SALU_CYCLE_1)
	s_and_saveexec_b32 s17, s0
	s_cbranch_execz .LBB2_22
; %bb.13:
	v_sub_nc_u64_e64 v[2:3], v[2:3], s[4:5]
                                        ; implicit-def: $vgpr10_vgpr11
	s_mov_b32 s0, exec_lo
	s_delay_alu instid0(VALU_DEP_1) | instskip(NEXT) | instid1(VALU_DEP_1)
	v_dual_mov_b32 v0, 0 :: v_dual_bitop2_b32 v1, s3, v3 bitop3:0x54
	v_cmpx_ne_u64_e32 0, v[0:1]
	s_xor_b32 s1, exec_lo, s0
	s_cbranch_execz .LBB2_15
; %bb.14:
	s_ashr_i32 s10, s3, 31
	s_mov_b32 s25, 0
	s_mov_b32 s11, s10
	v_dual_mov_b32 v15, v0 :: v_dual_ashrrev_i32 v10, 31, v3
	s_add_nc_u64 s[12:13], s[2:3], s[10:11]
	v_mov_b32_e32 v17, v0
	s_xor_b64 s[12:13], s[12:13], s[10:11]
	s_delay_alu instid0(VALU_DEP_2)
	v_mov_b32_e32 v11, v10
	s_cvt_f32_u32 s0, s12
	s_cvt_f32_u32 s11, s13
	s_sub_nc_u64 s[20:21], 0, s[12:13]
	v_mov_b32_e32 v23, v0
	v_add_nc_u64_e32 v[2:3], v[2:3], v[10:11]
	s_fmamk_f32 s0, s11, 0x4f800000, s0
	v_mov_b32_e32 v1, v0
	s_delay_alu instid0(SALU_CYCLE_2) | instskip(NEXT) | instid1(VALU_DEP_2)
	v_s_rcp_f32 s0, s0
	v_xor_b32_e32 v14, v2, v10
	s_delay_alu instid0(VALU_DEP_3) | instskip(NEXT) | instid1(TRANS32_DEP_1)
	v_xor_b32_e32 v16, v3, v10
	s_mul_f32 s0, s0, 0x5f7ffffc
	s_delay_alu instid0(SALU_CYCLE_3) | instskip(NEXT) | instid1(SALU_CYCLE_3)
	s_mul_f32 s11, s0, 0x2f800000
	s_trunc_f32 s11, s11
	s_delay_alu instid0(SALU_CYCLE_3) | instskip(SKIP_1) | instid1(SALU_CYCLE_2)
	s_fmamk_f32 s0, s11, 0xcf800000, s0
	s_cvt_u32_f32 s19, s11
	s_cvt_u32_f32 s18, s0
	s_delay_alu instid0(SALU_CYCLE_3) | instskip(NEXT) | instid1(SALU_CYCLE_1)
	s_mul_u64 s[22:23], s[20:21], s[18:19]
	s_mul_hi_u32 s27, s18, s23
	s_mul_i32 s26, s18, s23
	s_mul_hi_u32 s24, s18, s22
	s_mul_i32 s11, s19, s22
	s_add_nc_u64 s[26:27], s[24:25], s[26:27]
	s_mul_hi_u32 s0, s19, s22
	s_mul_hi_u32 s28, s19, s23
	s_add_co_u32 s11, s26, s11
	s_add_co_ci_u32 s24, s27, s0
	s_mul_i32 s22, s19, s23
	s_add_co_ci_u32 s23, s28, 0
	s_delay_alu instid0(SALU_CYCLE_1) | instskip(NEXT) | instid1(SALU_CYCLE_1)
	s_add_nc_u64 s[22:23], s[24:25], s[22:23]
	s_add_co_u32 s18, s18, s22
	s_cselect_b32 s0, -1, 0
	s_delay_alu instid0(SALU_CYCLE_1) | instskip(SKIP_1) | instid1(SALU_CYCLE_1)
	s_cmp_lg_u32 s0, 0
	s_add_co_ci_u32 s19, s19, s23
	s_mul_u64 s[20:21], s[20:21], s[18:19]
	s_delay_alu instid0(SALU_CYCLE_1)
	s_mul_hi_u32 s23, s18, s21
	s_mul_i32 s22, s18, s21
	s_mul_hi_u32 s24, s18, s20
	s_mul_i32 s11, s19, s20
	s_add_nc_u64 s[22:23], s[24:25], s[22:23]
	s_mul_hi_u32 s0, s19, s20
	s_mul_hi_u32 s26, s19, s21
	s_add_co_u32 s11, s22, s11
	s_add_co_ci_u32 s24, s23, s0
	s_mul_i32 s20, s19, s21
	s_add_co_ci_u32 s21, s26, 0
	s_delay_alu instid0(SALU_CYCLE_1) | instskip(NEXT) | instid1(SALU_CYCLE_1)
	s_add_nc_u64 s[20:21], s[24:25], s[20:21]
	s_add_co_u32 s0, s18, s20
	s_cselect_b32 s11, -1, 0
	v_mul_hi_u32 v22, v14, s0
	s_cmp_lg_u32 s11, 0
	s_add_co_ci_u32 s24, s19, s21
	s_mov_b64 s[18:19], 0xffffffff
	v_mul_u64_e32 v[18:19], s[24:25], v[14:15]
	s_and_b64 s[18:19], s[0:1], s[18:19]
	v_mul_u64_e32 v[20:21], s[24:25], v[16:17]
	v_mul_u64_e32 v[2:3], s[18:19], v[16:17]
	s_delay_alu instid0(VALU_DEP_3) | instskip(NEXT) | instid1(VALU_DEP_1)
	v_add_nc_u64_e32 v[18:19], v[22:23], v[18:19]
	v_add_co_u32 v0, vcc_lo, v18, v2
	s_delay_alu instid0(VALU_DEP_2) | instskip(SKIP_1) | instid1(VALU_DEP_1)
	v_add_co_ci_u32_e32 v0, vcc_lo, v19, v3, vcc_lo
	v_add_co_ci_u32_e32 v21, vcc_lo, 0, v21, vcc_lo
	v_add_nc_u64_e32 v[0:1], v[0:1], v[20:21]
	s_delay_alu instid0(VALU_DEP_1) | instskip(NEXT) | instid1(VALU_DEP_1)
	v_mul_u64_e32 v[2:3], s[12:13], v[0:1]
	v_sub_nc_u32_e32 v11, v16, v3
	s_delay_alu instid0(VALU_DEP_2) | instskip(NEXT) | instid1(VALU_DEP_1)
	v_sub_co_u32 v2, vcc_lo, v14, v2
	v_sub_co_ci_u32_e64 v16, null, v16, v3, vcc_lo
	s_delay_alu instid0(VALU_DEP_3) | instskip(NEXT) | instid1(VALU_DEP_3)
	v_subrev_co_ci_u32_e64 v11, null, s13, v11, vcc_lo
	v_sub_co_u32 v13, s0, v2, s12
	v_add_nc_u64_e32 v[14:15], 1, v[0:1]
	s_delay_alu instid0(VALU_DEP_3) | instskip(NEXT) | instid1(VALU_DEP_3)
	v_subrev_co_ci_u32_e64 v11, null, 0, v11, s0
	v_cmp_le_u32_e32 vcc_lo, s12, v13
	v_cndmask_b32_e64 v3, 0, -1, vcc_lo
	s_delay_alu instid0(VALU_DEP_3)
	v_cmp_le_u32_e32 vcc_lo, s13, v11
	v_cndmask_b32_e64 v13, 0, -1, vcc_lo
	v_cmp_le_u32_e32 vcc_lo, s12, v2
	v_cndmask_b32_e64 v17, 0, -1, vcc_lo
	v_cmp_le_u32_e32 vcc_lo, s13, v16
	v_cndmask_b32_e64 v18, 0, -1, vcc_lo
	v_cmp_eq_u32_e32 vcc_lo, s13, v11
	v_cndmask_b32_e32 v11, v13, v3, vcc_lo
	v_cmp_eq_u32_e32 vcc_lo, s13, v16
	v_add_nc_u64_e32 v[2:3], 2, v[0:1]
	v_cndmask_b32_e32 v13, v18, v17, vcc_lo
	s_delay_alu instid0(VALU_DEP_4) | instskip(NEXT) | instid1(VALU_DEP_2)
	v_cmp_ne_u32_e32 vcc_lo, 0, v11
	v_cmp_ne_u32_e64 s0, 0, v13
	s_delay_alu instid0(VALU_DEP_4) | instskip(NEXT) | instid1(VALU_DEP_1)
	v_dual_cndmask_b32 v3, v15, v3, vcc_lo :: v_dual_cndmask_b32 v11, v14, v2, vcc_lo
	v_dual_cndmask_b32 v1, v1, v3, s0 :: v_dual_bitop2_b32 v2, s10, v10 bitop3:0x14
	s_delay_alu instid0(VALU_DEP_1) | instskip(NEXT) | instid1(VALU_DEP_2)
	v_dual_cndmask_b32 v0, v0, v11, s0 :: v_dual_mov_b32 v3, v2
	v_xor_b32_e32 v1, v1, v2
	s_delay_alu instid0(VALU_DEP_2) | instskip(NEXT) | instid1(VALU_DEP_1)
	v_xor_b32_e32 v0, v0, v2
	v_sub_nc_u64_e32 v[10:11], v[0:1], v[2:3]
                                        ; implicit-def: $vgpr2_vgpr3
.LBB2_15:
	s_and_not1_saveexec_b32 s0, s1
	s_cbranch_execz .LBB2_17
; %bb.16:
	v_cvt_f32_u32_e32 v0, s2
	s_sub_co_i32 s1, 0, s2
	s_delay_alu instid0(VALU_DEP_1) | instskip(SKIP_1) | instid1(TRANS32_DEP_1)
	v_rcp_iflag_f32_e32 v0, v0
	v_nop
	v_mul_f32_e32 v0, 0x4f7ffffe, v0
	s_delay_alu instid0(VALU_DEP_1) | instskip(NEXT) | instid1(VALU_DEP_1)
	v_cvt_u32_f32_e32 v0, v0
	v_mul_lo_u32 v1, s1, v0
	s_delay_alu instid0(VALU_DEP_1) | instskip(NEXT) | instid1(VALU_DEP_1)
	v_mul_hi_u32 v1, v0, v1
	v_add_nc_u32_e32 v0, v0, v1
	s_delay_alu instid0(VALU_DEP_1) | instskip(NEXT) | instid1(VALU_DEP_1)
	v_mul_hi_u32 v0, v2, v0
	v_mul_lo_u32 v1, v0, s2
	s_delay_alu instid0(VALU_DEP_1) | instskip(NEXT) | instid1(VALU_DEP_1)
	v_dual_sub_nc_u32 v1, v2, v1 :: v_dual_add_nc_u32 v2, 1, v0
	v_subrev_nc_u32_e32 v3, s2, v1
	v_cmp_le_u32_e32 vcc_lo, s2, v1
	s_delay_alu instid0(VALU_DEP_2) | instskip(NEXT) | instid1(VALU_DEP_1)
	v_dual_cndmask_b32 v1, v1, v3 :: v_dual_cndmask_b32 v0, v0, v2
	v_cmp_le_u32_e32 vcc_lo, s2, v1
	s_delay_alu instid0(VALU_DEP_2) | instskip(NEXT) | instid1(VALU_DEP_1)
	v_add_nc_u32_e32 v2, 1, v0
	v_cndmask_b32_e32 v10, v0, v2, vcc_lo
.LBB2_17:
	s_or_b32 exec_lo, exec_lo, s0
	v_cmp_gt_u32_e64 s0, s14, v12
	s_mov_b32 s1, 0
	s_and_not1_b32 vcc_lo, exec_lo, s16
	v_mov_b64_e32 v[0:1], s[0:1]
	s_cbranch_vccnz .LBB2_20
; %bb.18:
	v_mov_b64_e32 v[0:1], s[0:1]
	v_mov_b32_e32 v11, 0
	s_sub_co_i32 s10, 0, s15
.LBB2_19:                               ; =>This Inner Loop Header: Depth=1
	s_add_co_i32 s11, s1, 63
	s_add_co_i32 s1, s1, -1
	s_delay_alu instid0(VALU_DEP_1) | instskip(SKIP_1) | instid1(VALU_DEP_1)
	v_lshlrev_b64_e32 v[2:3], s11, v[10:11]
	s_cmp_lg_u32 s10, s1
	v_not_b32_e32 v13, v3
	s_delay_alu instid0(VALU_DEP_2) | instskip(NEXT) | instid1(VALU_DEP_2)
	v_cmp_gt_i64_e32 vcc_lo, 0, v[2:3]
	v_ashrrev_i32_e32 v2, 31, v13
	s_delay_alu instid0(VALU_DEP_1) | instskip(NEXT) | instid1(VALU_DEP_1)
	v_xor_b32_e32 v3, vcc_lo, v2
	v_and_b32_e32 v0, v3, v0
	v_and_b32_e32 v1, v2, v1
	s_cbranch_scc1 .LBB2_19
.LBB2_20:
	s_delay_alu instid0(VALU_DEP_1) | instskip(NEXT) | instid1(VALU_DEP_1)
	v_dual_cndmask_b32 v0, 0, v0, s0 :: v_dual_cndmask_b32 v1, 0, v1, s0
	v_mbcnt_lo_u32_b32 v2, v0, 0
	s_delay_alu instid0(VALU_DEP_2) | instskip(NEXT) | instid1(VALU_DEP_2)
	v_cmp_ne_u64_e32 vcc_lo, 0, v[0:1]
	v_cmp_eq_u32_e64 s0, 0, v2
	s_and_b32 s0, vcc_lo, s0
	s_delay_alu instid0(SALU_CYCLE_1)
	s_and_b32 exec_lo, exec_lo, s0
	s_cbranch_execz .LBB2_22
; %bb.21:
	v_mov_b32_e32 v11, 0
	v_bcnt_u32_b32 v0, v0, 0
	s_delay_alu instid0(VALU_DEP_2) | instskip(NEXT) | instid1(VALU_DEP_2)
	v_lshl_add_u64 v[2:3], v[10:11], 3, s[8:9]
	v_bcnt_u32_b32 v10, v1, v0
	global_atomic_add_u64 v[2:3], v[10:11], off scope:SCOPE_DEV
.LBB2_22:
	s_wait_xcnt 0x0
	s_or_b32 exec_lo, exec_lo, s17
	s_wait_loadcnt 0x0
	v_cmp_le_i64_e32 vcc_lo, s[4:5], v[4:5]
	v_cmp_gt_i64_e64 s0, s[6:7], v[4:5]
	s_and_b32 s0, vcc_lo, s0
	s_delay_alu instid0(SALU_CYCLE_1)
	s_and_saveexec_b32 s17, s0
	s_cbranch_execz .LBB2_32
; %bb.23:
	v_sub_nc_u64_e64 v[2:3], v[4:5], s[4:5]
                                        ; implicit-def: $vgpr4_vgpr5
	s_mov_b32 s0, exec_lo
	s_delay_alu instid0(VALU_DEP_1) | instskip(NEXT) | instid1(VALU_DEP_1)
	v_dual_mov_b32 v0, 0 :: v_dual_bitop2_b32 v1, s3, v3 bitop3:0x54
	v_cmpx_ne_u64_e32 0, v[0:1]
	s_xor_b32 s1, exec_lo, s0
	s_cbranch_execz .LBB2_25
; %bb.24:
	s_ashr_i32 s10, s3, 31
	s_mov_b32 s25, 0
	s_mov_b32 s11, s10
	v_dual_mov_b32 v11, v0 :: v_dual_ashrrev_i32 v4, 31, v3
	s_add_nc_u64 s[12:13], s[2:3], s[10:11]
	v_dual_mov_b32 v21, v0 :: v_dual_mov_b32 v1, v0
	s_xor_b64 s[12:13], s[12:13], s[10:11]
	s_delay_alu instid0(VALU_DEP_2) | instskip(SKIP_3) | instid1(VALU_DEP_1)
	v_mov_b32_e32 v5, v4
	s_cvt_f32_u32 s0, s12
	s_cvt_f32_u32 s11, s13
	s_sub_nc_u64 s[20:21], 0, s[12:13]
	v_add_nc_u64_e32 v[2:3], v[2:3], v[4:5]
	s_delay_alu instid0(SALU_CYCLE_1) | instskip(SKIP_1) | instid1(SALU_CYCLE_2)
	s_fmamk_f32 s0, s11, 0x4f800000, s0
	v_mov_b32_e32 v15, v0
	v_s_rcp_f32 s0, s0
	s_delay_alu instid0(VALU_DEP_2) | instskip(NEXT) | instid1(VALU_DEP_3)
	v_xor_b32_e32 v10, v2, v4
	v_xor_b32_e32 v14, v3, v4
	s_delay_alu instid0(TRANS32_DEP_1) | instskip(NEXT) | instid1(SALU_CYCLE_3)
	s_mul_f32 s0, s0, 0x5f7ffffc
	s_mul_f32 s11, s0, 0x2f800000
	s_delay_alu instid0(SALU_CYCLE_3) | instskip(NEXT) | instid1(SALU_CYCLE_3)
	s_trunc_f32 s11, s11
	s_fmamk_f32 s0, s11, 0xcf800000, s0
	s_cvt_u32_f32 s19, s11
	s_delay_alu instid0(SALU_CYCLE_2) | instskip(NEXT) | instid1(SALU_CYCLE_3)
	s_cvt_u32_f32 s18, s0
	s_mul_u64 s[22:23], s[20:21], s[18:19]
	s_delay_alu instid0(SALU_CYCLE_1)
	s_mul_hi_u32 s27, s18, s23
	s_mul_i32 s26, s18, s23
	s_mul_hi_u32 s24, s18, s22
	s_mul_i32 s11, s19, s22
	s_add_nc_u64 s[26:27], s[24:25], s[26:27]
	s_mul_hi_u32 s0, s19, s22
	s_mul_hi_u32 s28, s19, s23
	s_add_co_u32 s11, s26, s11
	s_add_co_ci_u32 s24, s27, s0
	s_mul_i32 s22, s19, s23
	s_add_co_ci_u32 s23, s28, 0
	s_delay_alu instid0(SALU_CYCLE_1) | instskip(NEXT) | instid1(SALU_CYCLE_1)
	s_add_nc_u64 s[22:23], s[24:25], s[22:23]
	s_add_co_u32 s18, s18, s22
	s_cselect_b32 s0, -1, 0
	s_delay_alu instid0(SALU_CYCLE_1) | instskip(SKIP_1) | instid1(SALU_CYCLE_1)
	s_cmp_lg_u32 s0, 0
	s_add_co_ci_u32 s19, s19, s23
	s_mul_u64 s[20:21], s[20:21], s[18:19]
	s_delay_alu instid0(SALU_CYCLE_1)
	s_mul_hi_u32 s23, s18, s21
	s_mul_i32 s22, s18, s21
	s_mul_hi_u32 s24, s18, s20
	s_mul_i32 s11, s19, s20
	s_add_nc_u64 s[22:23], s[24:25], s[22:23]
	s_mul_hi_u32 s0, s19, s20
	s_mul_hi_u32 s26, s19, s21
	s_add_co_u32 s11, s22, s11
	s_add_co_ci_u32 s24, s23, s0
	s_mul_i32 s20, s19, s21
	s_add_co_ci_u32 s21, s26, 0
	s_delay_alu instid0(SALU_CYCLE_1) | instskip(NEXT) | instid1(SALU_CYCLE_1)
	s_add_nc_u64 s[20:21], s[24:25], s[20:21]
	s_add_co_u32 s0, s18, s20
	s_cselect_b32 s11, -1, 0
	v_mul_hi_u32 v20, v10, s0
	s_cmp_lg_u32 s11, 0
	s_add_co_ci_u32 s24, s19, s21
	s_mov_b64 s[18:19], 0xffffffff
	v_mul_u64_e32 v[16:17], s[24:25], v[10:11]
	s_and_b64 s[18:19], s[0:1], s[18:19]
	v_mul_u64_e32 v[18:19], s[24:25], v[14:15]
	v_mul_u64_e32 v[2:3], s[18:19], v[14:15]
	s_delay_alu instid0(VALU_DEP_3) | instskip(NEXT) | instid1(VALU_DEP_1)
	v_add_nc_u64_e32 v[16:17], v[20:21], v[16:17]
	v_add_co_u32 v0, vcc_lo, v16, v2
	s_delay_alu instid0(VALU_DEP_2) | instskip(SKIP_1) | instid1(VALU_DEP_1)
	v_add_co_ci_u32_e32 v0, vcc_lo, v17, v3, vcc_lo
	v_add_co_ci_u32_e32 v19, vcc_lo, 0, v19, vcc_lo
	v_add_nc_u64_e32 v[0:1], v[0:1], v[18:19]
	s_delay_alu instid0(VALU_DEP_1) | instskip(NEXT) | instid1(VALU_DEP_1)
	v_mul_u64_e32 v[2:3], s[12:13], v[0:1]
	v_sub_nc_u32_e32 v5, v14, v3
	s_delay_alu instid0(VALU_DEP_2) | instskip(NEXT) | instid1(VALU_DEP_1)
	v_sub_co_u32 v2, vcc_lo, v10, v2
	v_sub_co_ci_u32_e64 v13, null, v14, v3, vcc_lo
	s_delay_alu instid0(VALU_DEP_3) | instskip(NEXT) | instid1(VALU_DEP_3)
	v_subrev_co_ci_u32_e64 v5, null, s13, v5, vcc_lo
	v_sub_co_u32 v10, s0, v2, s12
	s_delay_alu instid0(VALU_DEP_1) | instskip(NEXT) | instid1(VALU_DEP_2)
	v_subrev_co_ci_u32_e64 v5, null, 0, v5, s0
	v_cmp_le_u32_e32 vcc_lo, s12, v10
	v_cndmask_b32_e64 v3, 0, -1, vcc_lo
	s_delay_alu instid0(VALU_DEP_3)
	v_cmp_le_u32_e32 vcc_lo, s13, v5
	v_cndmask_b32_e64 v10, 0, -1, vcc_lo
	v_cmp_le_u32_e32 vcc_lo, s12, v2
	v_cndmask_b32_e64 v14, 0, -1, vcc_lo
	;; [unrolled: 2-line block ×3, first 2 shown]
	v_cmp_eq_u32_e32 vcc_lo, s13, v5
	v_cndmask_b32_e32 v5, v10, v3, vcc_lo
	v_cmp_eq_u32_e32 vcc_lo, s13, v13
	v_add_nc_u64_e32 v[2:3], 2, v[0:1]
	v_add_nc_u64_e32 v[10:11], 1, v[0:1]
	v_cndmask_b32_e32 v13, v15, v14, vcc_lo
	v_cmp_ne_u32_e32 vcc_lo, 0, v5
	s_delay_alu instid0(VALU_DEP_2) | instskip(NEXT) | instid1(VALU_DEP_4)
	v_cmp_ne_u32_e64 s0, 0, v13
	v_dual_cndmask_b32 v3, v11, v3, vcc_lo :: v_dual_cndmask_b32 v5, v10, v2, vcc_lo
	s_delay_alu instid0(VALU_DEP_1) | instskip(NEXT) | instid1(VALU_DEP_1)
	v_dual_cndmask_b32 v1, v1, v3, s0 :: v_dual_bitop2_b32 v2, s10, v4 bitop3:0x14
	v_dual_cndmask_b32 v0, v0, v5, s0 :: v_dual_mov_b32 v3, v2
	s_delay_alu instid0(VALU_DEP_2) | instskip(NEXT) | instid1(VALU_DEP_2)
	v_xor_b32_e32 v1, v1, v2
	v_xor_b32_e32 v0, v0, v2
	s_delay_alu instid0(VALU_DEP_1)
	v_sub_nc_u64_e32 v[4:5], v[0:1], v[2:3]
                                        ; implicit-def: $vgpr2_vgpr3
.LBB2_25:
	s_and_not1_saveexec_b32 s0, s1
	s_cbranch_execz .LBB2_27
; %bb.26:
	v_cvt_f32_u32_e32 v0, s2
	s_sub_co_i32 s1, 0, s2
	s_delay_alu instid0(VALU_DEP_1) | instskip(SKIP_1) | instid1(TRANS32_DEP_1)
	v_rcp_iflag_f32_e32 v0, v0
	v_nop
	v_mul_f32_e32 v0, 0x4f7ffffe, v0
	s_delay_alu instid0(VALU_DEP_1) | instskip(NEXT) | instid1(VALU_DEP_1)
	v_cvt_u32_f32_e32 v0, v0
	v_mul_lo_u32 v1, s1, v0
	s_delay_alu instid0(VALU_DEP_1) | instskip(NEXT) | instid1(VALU_DEP_1)
	v_mul_hi_u32 v1, v0, v1
	v_add_nc_u32_e32 v0, v0, v1
	s_delay_alu instid0(VALU_DEP_1) | instskip(NEXT) | instid1(VALU_DEP_1)
	v_mul_hi_u32 v0, v2, v0
	v_mul_lo_u32 v1, v0, s2
	s_delay_alu instid0(VALU_DEP_1) | instskip(NEXT) | instid1(VALU_DEP_1)
	v_dual_sub_nc_u32 v1, v2, v1 :: v_dual_add_nc_u32 v2, 1, v0
	v_subrev_nc_u32_e32 v3, s2, v1
	v_cmp_le_u32_e32 vcc_lo, s2, v1
	s_delay_alu instid0(VALU_DEP_2) | instskip(NEXT) | instid1(VALU_DEP_1)
	v_dual_cndmask_b32 v1, v1, v3 :: v_dual_cndmask_b32 v0, v0, v2
	v_cmp_le_u32_e32 vcc_lo, s2, v1
	s_delay_alu instid0(VALU_DEP_2) | instskip(NEXT) | instid1(VALU_DEP_1)
	v_add_nc_u32_e32 v2, 1, v0
	v_cndmask_b32_e32 v4, v0, v2, vcc_lo
.LBB2_27:
	s_or_b32 exec_lo, exec_lo, s0
	v_or_b32_e32 v0, 1, v12
	s_mov_b32 s1, 0
	s_and_not1_b32 vcc_lo, exec_lo, s16
	s_delay_alu instid0(VALU_DEP_1) | instskip(NEXT) | instid1(VALU_DEP_1)
	v_cmp_gt_u32_e64 s0, s14, v0
	v_mov_b64_e32 v[0:1], s[0:1]
	s_cbranch_vccnz .LBB2_30
; %bb.28:
	v_mov_b64_e32 v[0:1], s[0:1]
	v_mov_b32_e32 v5, 0
	s_sub_co_i32 s10, 0, s15
.LBB2_29:                               ; =>This Inner Loop Header: Depth=1
	s_add_co_i32 s11, s1, 63
	s_add_co_i32 s1, s1, -1
	s_delay_alu instid0(VALU_DEP_1) | instskip(SKIP_1) | instid1(VALU_DEP_1)
	v_lshlrev_b64_e32 v[2:3], s11, v[4:5]
	s_cmp_lg_u32 s10, s1
	v_not_b32_e32 v10, v3
	s_delay_alu instid0(VALU_DEP_2) | instskip(NEXT) | instid1(VALU_DEP_2)
	v_cmp_gt_i64_e32 vcc_lo, 0, v[2:3]
	v_ashrrev_i32_e32 v2, 31, v10
	s_delay_alu instid0(VALU_DEP_1) | instskip(NEXT) | instid1(VALU_DEP_1)
	v_xor_b32_e32 v3, vcc_lo, v2
	v_and_b32_e32 v0, v3, v0
	v_and_b32_e32 v1, v2, v1
	s_cbranch_scc1 .LBB2_29
.LBB2_30:
	s_delay_alu instid0(VALU_DEP_1) | instskip(NEXT) | instid1(VALU_DEP_1)
	v_dual_cndmask_b32 v0, 0, v0, s0 :: v_dual_cndmask_b32 v1, 0, v1, s0
	v_mbcnt_lo_u32_b32 v2, v0, 0
	s_delay_alu instid0(VALU_DEP_2) | instskip(NEXT) | instid1(VALU_DEP_2)
	v_cmp_ne_u64_e32 vcc_lo, 0, v[0:1]
	v_cmp_eq_u32_e64 s0, 0, v2
	s_and_b32 s0, vcc_lo, s0
	s_delay_alu instid0(SALU_CYCLE_1)
	s_and_b32 exec_lo, exec_lo, s0
	s_cbranch_execz .LBB2_32
; %bb.31:
	v_mov_b32_e32 v5, 0
	v_bcnt_u32_b32 v0, v0, 0
	s_delay_alu instid0(VALU_DEP_2) | instskip(NEXT) | instid1(VALU_DEP_2)
	v_lshl_add_u64 v[2:3], v[4:5], 3, s[8:9]
	v_bcnt_u32_b32 v4, v1, v0
	global_atomic_add_u64 v[2:3], v[4:5], off scope:SCOPE_DEV
.LBB2_32:
	s_wait_xcnt 0x0
	s_or_b32 exec_lo, exec_lo, s17
	v_cmp_le_i64_e32 vcc_lo, s[4:5], v[6:7]
	v_cmp_gt_i64_e64 s0, s[6:7], v[6:7]
	s_and_b32 s0, vcc_lo, s0
	s_delay_alu instid0(SALU_CYCLE_1)
	s_and_saveexec_b32 s17, s0
	s_cbranch_execz .LBB2_42
; %bb.33:
	v_sub_nc_u64_e64 v[2:3], v[6:7], s[4:5]
                                        ; implicit-def: $vgpr4_vgpr5
	s_mov_b32 s0, exec_lo
	s_delay_alu instid0(VALU_DEP_1) | instskip(NEXT) | instid1(VALU_DEP_1)
	v_dual_mov_b32 v0, 0 :: v_dual_bitop2_b32 v1, s3, v3 bitop3:0x54
	v_cmpx_ne_u64_e32 0, v[0:1]
	s_xor_b32 s1, exec_lo, s0
	s_cbranch_execz .LBB2_35
; %bb.34:
	s_ashr_i32 s10, s3, 31
	s_mov_b32 s25, 0
	s_mov_b32 s11, s10
	v_dual_mov_b32 v7, v0 :: v_dual_ashrrev_i32 v4, 31, v3
	s_add_nc_u64 s[12:13], s[2:3], s[10:11]
	v_dual_mov_b32 v19, v0 :: v_dual_mov_b32 v1, v0
	s_xor_b64 s[12:13], s[12:13], s[10:11]
	s_delay_alu instid0(VALU_DEP_2) | instskip(SKIP_3) | instid1(VALU_DEP_1)
	v_mov_b32_e32 v5, v4
	s_cvt_f32_u32 s0, s12
	s_cvt_f32_u32 s11, s13
	s_sub_nc_u64 s[20:21], 0, s[12:13]
	v_add_nc_u64_e32 v[2:3], v[2:3], v[4:5]
	s_delay_alu instid0(SALU_CYCLE_1) | instskip(SKIP_1) | instid1(SALU_CYCLE_2)
	s_fmamk_f32 s0, s11, 0x4f800000, s0
	v_mov_b32_e32 v11, v0
	v_s_rcp_f32 s0, s0
	s_delay_alu instid0(VALU_DEP_2) | instskip(NEXT) | instid1(VALU_DEP_3)
	v_xor_b32_e32 v6, v2, v4
	v_xor_b32_e32 v10, v3, v4
	s_delay_alu instid0(TRANS32_DEP_1) | instskip(NEXT) | instid1(SALU_CYCLE_3)
	s_mul_f32 s0, s0, 0x5f7ffffc
	s_mul_f32 s11, s0, 0x2f800000
	s_delay_alu instid0(SALU_CYCLE_3) | instskip(NEXT) | instid1(SALU_CYCLE_3)
	s_trunc_f32 s11, s11
	s_fmamk_f32 s0, s11, 0xcf800000, s0
	s_cvt_u32_f32 s19, s11
	s_delay_alu instid0(SALU_CYCLE_2) | instskip(NEXT) | instid1(SALU_CYCLE_3)
	s_cvt_u32_f32 s18, s0
	s_mul_u64 s[22:23], s[20:21], s[18:19]
	s_delay_alu instid0(SALU_CYCLE_1)
	s_mul_hi_u32 s27, s18, s23
	s_mul_i32 s26, s18, s23
	s_mul_hi_u32 s24, s18, s22
	s_mul_i32 s11, s19, s22
	s_add_nc_u64 s[26:27], s[24:25], s[26:27]
	s_mul_hi_u32 s0, s19, s22
	s_mul_hi_u32 s28, s19, s23
	s_add_co_u32 s11, s26, s11
	s_add_co_ci_u32 s24, s27, s0
	s_mul_i32 s22, s19, s23
	s_add_co_ci_u32 s23, s28, 0
	s_delay_alu instid0(SALU_CYCLE_1) | instskip(NEXT) | instid1(SALU_CYCLE_1)
	s_add_nc_u64 s[22:23], s[24:25], s[22:23]
	s_add_co_u32 s18, s18, s22
	s_cselect_b32 s0, -1, 0
	s_delay_alu instid0(SALU_CYCLE_1) | instskip(SKIP_1) | instid1(SALU_CYCLE_1)
	s_cmp_lg_u32 s0, 0
	s_add_co_ci_u32 s19, s19, s23
	s_mul_u64 s[20:21], s[20:21], s[18:19]
	s_delay_alu instid0(SALU_CYCLE_1)
	s_mul_hi_u32 s23, s18, s21
	s_mul_i32 s22, s18, s21
	s_mul_hi_u32 s24, s18, s20
	s_mul_i32 s11, s19, s20
	s_add_nc_u64 s[22:23], s[24:25], s[22:23]
	s_mul_hi_u32 s0, s19, s20
	s_mul_hi_u32 s26, s19, s21
	s_add_co_u32 s11, s22, s11
	s_add_co_ci_u32 s24, s23, s0
	s_mul_i32 s20, s19, s21
	s_add_co_ci_u32 s21, s26, 0
	s_delay_alu instid0(SALU_CYCLE_1) | instskip(NEXT) | instid1(SALU_CYCLE_1)
	s_add_nc_u64 s[20:21], s[24:25], s[20:21]
	s_add_co_u32 s0, s18, s20
	s_cselect_b32 s11, -1, 0
	v_mul_hi_u32 v18, v6, s0
	s_cmp_lg_u32 s11, 0
	s_add_co_ci_u32 s24, s19, s21
	s_mov_b64 s[18:19], 0xffffffff
	v_mul_u64_e32 v[14:15], s[24:25], v[6:7]
	s_and_b64 s[18:19], s[0:1], s[18:19]
	v_mul_u64_e32 v[16:17], s[24:25], v[10:11]
	v_mul_u64_e32 v[2:3], s[18:19], v[10:11]
	s_delay_alu instid0(VALU_DEP_3) | instskip(NEXT) | instid1(VALU_DEP_1)
	v_add_nc_u64_e32 v[14:15], v[18:19], v[14:15]
	v_add_co_u32 v0, vcc_lo, v14, v2
	s_delay_alu instid0(VALU_DEP_2) | instskip(SKIP_1) | instid1(VALU_DEP_1)
	v_add_co_ci_u32_e32 v0, vcc_lo, v15, v3, vcc_lo
	v_add_co_ci_u32_e32 v17, vcc_lo, 0, v17, vcc_lo
	v_add_nc_u64_e32 v[0:1], v[0:1], v[16:17]
	s_delay_alu instid0(VALU_DEP_1) | instskip(NEXT) | instid1(VALU_DEP_1)
	v_mul_u64_e32 v[2:3], s[12:13], v[0:1]
	v_sub_nc_u32_e32 v5, v10, v3
	s_delay_alu instid0(VALU_DEP_2) | instskip(NEXT) | instid1(VALU_DEP_1)
	v_sub_co_u32 v2, vcc_lo, v6, v2
	v_sub_co_ci_u32_e64 v10, null, v10, v3, vcc_lo
	s_delay_alu instid0(VALU_DEP_3) | instskip(NEXT) | instid1(VALU_DEP_3)
	v_subrev_co_ci_u32_e64 v5, null, s13, v5, vcc_lo
	v_sub_co_u32 v6, s0, v2, s12
	s_delay_alu instid0(VALU_DEP_1) | instskip(NEXT) | instid1(VALU_DEP_2)
	v_subrev_co_ci_u32_e64 v5, null, 0, v5, s0
	v_cmp_le_u32_e32 vcc_lo, s12, v6
	v_cndmask_b32_e64 v3, 0, -1, vcc_lo
	s_delay_alu instid0(VALU_DEP_3)
	v_cmp_le_u32_e32 vcc_lo, s13, v5
	v_cndmask_b32_e64 v6, 0, -1, vcc_lo
	v_cmp_le_u32_e32 vcc_lo, s12, v2
	v_cndmask_b32_e64 v11, 0, -1, vcc_lo
	;; [unrolled: 2-line block ×3, first 2 shown]
	v_cmp_eq_u32_e32 vcc_lo, s13, v5
	v_cndmask_b32_e32 v5, v6, v3, vcc_lo
	v_cmp_eq_u32_e32 vcc_lo, s13, v10
	v_add_nc_u64_e32 v[2:3], 2, v[0:1]
	v_add_nc_u64_e32 v[6:7], 1, v[0:1]
	v_cndmask_b32_e32 v10, v13, v11, vcc_lo
	v_cmp_ne_u32_e32 vcc_lo, 0, v5
	s_delay_alu instid0(VALU_DEP_3) | instskip(NEXT) | instid1(VALU_DEP_3)
	v_dual_cndmask_b32 v3, v7, v3, vcc_lo :: v_dual_cndmask_b32 v5, v6, v2, vcc_lo
	v_cmp_ne_u32_e64 s0, 0, v10
	s_delay_alu instid0(VALU_DEP_1) | instskip(NEXT) | instid1(VALU_DEP_1)
	v_dual_cndmask_b32 v1, v1, v3, s0 :: v_dual_bitop2_b32 v2, s10, v4 bitop3:0x14
	v_dual_cndmask_b32 v0, v0, v5, s0 :: v_dual_mov_b32 v3, v2
	s_delay_alu instid0(VALU_DEP_2) | instskip(NEXT) | instid1(VALU_DEP_2)
	v_xor_b32_e32 v1, v1, v2
	v_xor_b32_e32 v0, v0, v2
	s_delay_alu instid0(VALU_DEP_1)
	v_sub_nc_u64_e32 v[4:5], v[0:1], v[2:3]
                                        ; implicit-def: $vgpr2_vgpr3
.LBB2_35:
	s_and_not1_saveexec_b32 s0, s1
	s_cbranch_execz .LBB2_37
; %bb.36:
	v_cvt_f32_u32_e32 v0, s2
	s_sub_co_i32 s1, 0, s2
	s_delay_alu instid0(VALU_DEP_1) | instskip(SKIP_1) | instid1(TRANS32_DEP_1)
	v_rcp_iflag_f32_e32 v0, v0
	v_nop
	v_mul_f32_e32 v0, 0x4f7ffffe, v0
	s_delay_alu instid0(VALU_DEP_1) | instskip(NEXT) | instid1(VALU_DEP_1)
	v_cvt_u32_f32_e32 v0, v0
	v_mul_lo_u32 v1, s1, v0
	s_delay_alu instid0(VALU_DEP_1) | instskip(NEXT) | instid1(VALU_DEP_1)
	v_mul_hi_u32 v1, v0, v1
	v_add_nc_u32_e32 v0, v0, v1
	s_delay_alu instid0(VALU_DEP_1) | instskip(NEXT) | instid1(VALU_DEP_1)
	v_mul_hi_u32 v0, v2, v0
	v_mul_lo_u32 v1, v0, s2
	s_delay_alu instid0(VALU_DEP_1) | instskip(NEXT) | instid1(VALU_DEP_1)
	v_dual_sub_nc_u32 v1, v2, v1 :: v_dual_add_nc_u32 v2, 1, v0
	v_subrev_nc_u32_e32 v3, s2, v1
	v_cmp_le_u32_e32 vcc_lo, s2, v1
	s_delay_alu instid0(VALU_DEP_2) | instskip(NEXT) | instid1(VALU_DEP_1)
	v_dual_cndmask_b32 v1, v1, v3 :: v_dual_cndmask_b32 v0, v0, v2
	v_cmp_le_u32_e32 vcc_lo, s2, v1
	s_delay_alu instid0(VALU_DEP_2) | instskip(NEXT) | instid1(VALU_DEP_1)
	v_add_nc_u32_e32 v2, 1, v0
	v_cndmask_b32_e32 v4, v0, v2, vcc_lo
.LBB2_37:
	s_or_b32 exec_lo, exec_lo, s0
	v_or_b32_e32 v0, 2, v12
	s_mov_b32 s1, 0
	s_and_not1_b32 vcc_lo, exec_lo, s16
	s_delay_alu instid0(VALU_DEP_1) | instskip(NEXT) | instid1(VALU_DEP_1)
	v_cmp_gt_u32_e64 s0, s14, v0
	v_mov_b64_e32 v[0:1], s[0:1]
	s_cbranch_vccnz .LBB2_40
; %bb.38:
	v_mov_b64_e32 v[0:1], s[0:1]
	v_mov_b32_e32 v5, 0
	s_sub_co_i32 s10, 0, s15
.LBB2_39:                               ; =>This Inner Loop Header: Depth=1
	s_add_co_i32 s11, s1, 63
	s_add_co_i32 s1, s1, -1
	s_delay_alu instid0(VALU_DEP_1) | instskip(SKIP_1) | instid1(VALU_DEP_1)
	v_lshlrev_b64_e32 v[2:3], s11, v[4:5]
	s_cmp_lg_u32 s10, s1
	v_not_b32_e32 v6, v3
	s_delay_alu instid0(VALU_DEP_2) | instskip(NEXT) | instid1(VALU_DEP_2)
	v_cmp_gt_i64_e32 vcc_lo, 0, v[2:3]
	v_ashrrev_i32_e32 v2, 31, v6
	s_delay_alu instid0(VALU_DEP_1) | instskip(NEXT) | instid1(VALU_DEP_1)
	v_xor_b32_e32 v3, vcc_lo, v2
	v_and_b32_e32 v0, v3, v0
	v_and_b32_e32 v1, v2, v1
	s_cbranch_scc1 .LBB2_39
.LBB2_40:
	s_delay_alu instid0(VALU_DEP_1) | instskip(NEXT) | instid1(VALU_DEP_1)
	v_dual_cndmask_b32 v0, 0, v0, s0 :: v_dual_cndmask_b32 v1, 0, v1, s0
	v_mbcnt_lo_u32_b32 v2, v0, 0
	s_delay_alu instid0(VALU_DEP_2) | instskip(NEXT) | instid1(VALU_DEP_2)
	v_cmp_ne_u64_e32 vcc_lo, 0, v[0:1]
	v_cmp_eq_u32_e64 s0, 0, v2
	s_and_b32 s0, vcc_lo, s0
	s_delay_alu instid0(SALU_CYCLE_1)
	s_and_b32 exec_lo, exec_lo, s0
	s_cbranch_execz .LBB2_42
; %bb.41:
	v_mov_b32_e32 v5, 0
	v_bcnt_u32_b32 v0, v0, 0
	s_delay_alu instid0(VALU_DEP_2) | instskip(NEXT) | instid1(VALU_DEP_2)
	v_lshl_add_u64 v[2:3], v[4:5], 3, s[8:9]
	v_bcnt_u32_b32 v4, v1, v0
	global_atomic_add_u64 v[2:3], v[4:5], off scope:SCOPE_DEV
.LBB2_42:
	s_wait_xcnt 0x0
	s_or_b32 exec_lo, exec_lo, s17
	v_cmp_le_i64_e32 vcc_lo, s[4:5], v[8:9]
	v_cmp_gt_i64_e64 s0, s[6:7], v[8:9]
	s_and_b32 s0, vcc_lo, s0
	s_delay_alu instid0(SALU_CYCLE_1)
	s_and_saveexec_b32 s1, s0
	s_cbranch_execz .LBB2_52
; %bb.43:
	v_sub_nc_u64_e64 v[2:3], v[8:9], s[4:5]
                                        ; implicit-def: $vgpr4_vgpr5
	s_mov_b32 s0, exec_lo
	s_delay_alu instid0(VALU_DEP_1) | instskip(NEXT) | instid1(VALU_DEP_1)
	v_dual_mov_b32 v0, 0 :: v_dual_bitop2_b32 v1, s3, v3 bitop3:0x54
	v_cmpx_ne_u64_e32 0, v[0:1]
	s_xor_b32 s1, exec_lo, s0
	s_cbranch_execz .LBB2_45
; %bb.44:
	s_ashr_i32 s4, s3, 31
	s_mov_b32 s21, 0
	s_mov_b32 s5, s4
	v_dual_mov_b32 v7, v0 :: v_dual_ashrrev_i32 v4, 31, v3
	s_add_nc_u64 s[6:7], s[2:3], s[4:5]
	v_dual_mov_b32 v17, v0 :: v_dual_mov_b32 v1, v0
	s_xor_b64 s[6:7], s[6:7], s[4:5]
	s_delay_alu instid0(VALU_DEP_2) | instskip(SKIP_3) | instid1(VALU_DEP_1)
	v_mov_b32_e32 v5, v4
	s_cvt_f32_u32 s0, s6
	s_cvt_f32_u32 s3, s7
	s_sub_nc_u64 s[12:13], 0, s[6:7]
	v_add_nc_u64_e32 v[2:3], v[2:3], v[4:5]
	s_delay_alu instid0(SALU_CYCLE_1) | instskip(SKIP_1) | instid1(SALU_CYCLE_2)
	s_fmamk_f32 s0, s3, 0x4f800000, s0
	v_mov_b32_e32 v9, v0
	v_s_rcp_f32 s0, s0
	s_delay_alu instid0(VALU_DEP_2) | instskip(NEXT) | instid1(VALU_DEP_3)
	v_xor_b32_e32 v6, v2, v4
	v_xor_b32_e32 v8, v3, v4
	s_delay_alu instid0(TRANS32_DEP_1) | instskip(NEXT) | instid1(SALU_CYCLE_3)
	s_mul_f32 s0, s0, 0x5f7ffffc
	s_mul_f32 s3, s0, 0x2f800000
	s_delay_alu instid0(SALU_CYCLE_3) | instskip(NEXT) | instid1(SALU_CYCLE_3)
	s_trunc_f32 s3, s3
	s_fmamk_f32 s0, s3, 0xcf800000, s0
	s_cvt_u32_f32 s11, s3
	s_delay_alu instid0(SALU_CYCLE_2) | instskip(NEXT) | instid1(SALU_CYCLE_3)
	s_cvt_u32_f32 s10, s0
	s_mul_u64 s[18:19], s[12:13], s[10:11]
	s_delay_alu instid0(SALU_CYCLE_1)
	s_mul_hi_u32 s23, s10, s19
	s_mul_i32 s22, s10, s19
	s_mul_hi_u32 s20, s10, s18
	s_mul_i32 s3, s11, s18
	s_add_nc_u64 s[22:23], s[20:21], s[22:23]
	s_mul_hi_u32 s0, s11, s18
	s_mul_hi_u32 s5, s11, s19
	s_add_co_u32 s3, s22, s3
	s_add_co_ci_u32 s20, s23, s0
	s_mul_i32 s18, s11, s19
	s_add_co_ci_u32 s19, s5, 0
	s_delay_alu instid0(SALU_CYCLE_1) | instskip(NEXT) | instid1(SALU_CYCLE_1)
	s_add_nc_u64 s[18:19], s[20:21], s[18:19]
	s_add_co_u32 s10, s10, s18
	s_cselect_b32 s0, -1, 0
	s_delay_alu instid0(SALU_CYCLE_1) | instskip(SKIP_1) | instid1(SALU_CYCLE_1)
	s_cmp_lg_u32 s0, 0
	s_add_co_ci_u32 s11, s11, s19
	s_mul_u64 s[12:13], s[12:13], s[10:11]
	s_delay_alu instid0(SALU_CYCLE_1)
	s_mul_hi_u32 s19, s10, s13
	s_mul_i32 s18, s10, s13
	s_mul_hi_u32 s20, s10, s12
	s_mul_i32 s3, s11, s12
	s_add_nc_u64 s[18:19], s[20:21], s[18:19]
	s_mul_hi_u32 s0, s11, s12
	s_mul_hi_u32 s5, s11, s13
	s_add_co_u32 s3, s18, s3
	s_add_co_ci_u32 s20, s19, s0
	s_mul_i32 s12, s11, s13
	s_add_co_ci_u32 s13, s5, 0
	s_delay_alu instid0(SALU_CYCLE_1) | instskip(NEXT) | instid1(SALU_CYCLE_1)
	s_add_nc_u64 s[12:13], s[20:21], s[12:13]
	s_add_co_u32 s0, s10, s12
	s_cselect_b32 s3, -1, 0
	v_mul_hi_u32 v16, v6, s0
	s_cmp_lg_u32 s3, 0
	s_add_co_ci_u32 s20, s11, s13
	s_mov_b64 s[10:11], 0xffffffff
	v_mul_u64_e32 v[10:11], s[20:21], v[6:7]
	s_and_b64 s[10:11], s[0:1], s[10:11]
	v_mul_u64_e32 v[14:15], s[20:21], v[8:9]
	v_mul_u64_e32 v[2:3], s[10:11], v[8:9]
	s_delay_alu instid0(VALU_DEP_3) | instskip(NEXT) | instid1(VALU_DEP_1)
	v_add_nc_u64_e32 v[10:11], v[16:17], v[10:11]
	v_add_co_u32 v0, vcc_lo, v10, v2
	s_delay_alu instid0(VALU_DEP_2) | instskip(SKIP_1) | instid1(VALU_DEP_1)
	v_add_co_ci_u32_e32 v0, vcc_lo, v11, v3, vcc_lo
	v_add_co_ci_u32_e32 v15, vcc_lo, 0, v15, vcc_lo
	v_add_nc_u64_e32 v[0:1], v[0:1], v[14:15]
	s_delay_alu instid0(VALU_DEP_1) | instskip(NEXT) | instid1(VALU_DEP_1)
	v_mul_u64_e32 v[2:3], s[6:7], v[0:1]
	v_sub_nc_u32_e32 v5, v8, v3
	s_delay_alu instid0(VALU_DEP_2) | instskip(NEXT) | instid1(VALU_DEP_1)
	v_sub_co_u32 v2, vcc_lo, v6, v2
	v_sub_co_ci_u32_e64 v8, null, v8, v3, vcc_lo
	s_delay_alu instid0(VALU_DEP_3) | instskip(NEXT) | instid1(VALU_DEP_3)
	v_subrev_co_ci_u32_e64 v5, null, s7, v5, vcc_lo
	v_sub_co_u32 v6, s0, v2, s6
	s_delay_alu instid0(VALU_DEP_1) | instskip(NEXT) | instid1(VALU_DEP_2)
	v_subrev_co_ci_u32_e64 v5, null, 0, v5, s0
	v_cmp_le_u32_e32 vcc_lo, s6, v6
	v_cndmask_b32_e64 v3, 0, -1, vcc_lo
	s_delay_alu instid0(VALU_DEP_3)
	v_cmp_le_u32_e32 vcc_lo, s7, v5
	v_cndmask_b32_e64 v6, 0, -1, vcc_lo
	v_cmp_le_u32_e32 vcc_lo, s6, v2
	v_cndmask_b32_e64 v9, 0, -1, vcc_lo
	;; [unrolled: 2-line block ×3, first 2 shown]
	v_cmp_eq_u32_e32 vcc_lo, s7, v5
	v_cndmask_b32_e32 v5, v6, v3, vcc_lo
	v_cmp_eq_u32_e32 vcc_lo, s7, v8
	v_add_nc_u64_e32 v[2:3], 2, v[0:1]
	v_add_nc_u64_e32 v[6:7], 1, v[0:1]
	v_cndmask_b32_e32 v8, v10, v9, vcc_lo
	v_cmp_ne_u32_e32 vcc_lo, 0, v5
	s_delay_alu instid0(VALU_DEP_2) | instskip(NEXT) | instid1(VALU_DEP_4)
	v_cmp_ne_u32_e64 s0, 0, v8
	v_dual_cndmask_b32 v3, v7, v3, vcc_lo :: v_dual_cndmask_b32 v5, v6, v2, vcc_lo
	s_delay_alu instid0(VALU_DEP_1) | instskip(NEXT) | instid1(VALU_DEP_1)
	v_dual_cndmask_b32 v1, v1, v3, s0 :: v_dual_bitop2_b32 v2, s4, v4 bitop3:0x14
	v_dual_cndmask_b32 v0, v0, v5, s0 :: v_dual_mov_b32 v3, v2
	s_delay_alu instid0(VALU_DEP_2) | instskip(NEXT) | instid1(VALU_DEP_2)
	v_xor_b32_e32 v1, v1, v2
	v_xor_b32_e32 v0, v0, v2
	s_delay_alu instid0(VALU_DEP_1)
	v_sub_nc_u64_e32 v[4:5], v[0:1], v[2:3]
                                        ; implicit-def: $vgpr2_vgpr3
.LBB2_45:
	s_and_not1_saveexec_b32 s0, s1
	s_cbranch_execz .LBB2_47
; %bb.46:
	v_cvt_f32_u32_e32 v0, s2
	s_sub_co_i32 s1, 0, s2
	s_delay_alu instid0(VALU_DEP_1) | instskip(SKIP_1) | instid1(TRANS32_DEP_1)
	v_rcp_iflag_f32_e32 v0, v0
	v_nop
	v_mul_f32_e32 v0, 0x4f7ffffe, v0
	s_delay_alu instid0(VALU_DEP_1) | instskip(NEXT) | instid1(VALU_DEP_1)
	v_cvt_u32_f32_e32 v0, v0
	v_mul_lo_u32 v1, s1, v0
	s_delay_alu instid0(VALU_DEP_1) | instskip(NEXT) | instid1(VALU_DEP_1)
	v_mul_hi_u32 v1, v0, v1
	v_add_nc_u32_e32 v0, v0, v1
	s_delay_alu instid0(VALU_DEP_1) | instskip(NEXT) | instid1(VALU_DEP_1)
	v_mul_hi_u32 v0, v2, v0
	v_mul_lo_u32 v1, v0, s2
	s_delay_alu instid0(VALU_DEP_1) | instskip(NEXT) | instid1(VALU_DEP_1)
	v_dual_sub_nc_u32 v1, v2, v1 :: v_dual_add_nc_u32 v2, 1, v0
	v_subrev_nc_u32_e32 v3, s2, v1
	v_cmp_le_u32_e32 vcc_lo, s2, v1
	s_delay_alu instid0(VALU_DEP_2) | instskip(NEXT) | instid1(VALU_DEP_1)
	v_dual_cndmask_b32 v1, v1, v3 :: v_dual_cndmask_b32 v0, v0, v2
	v_cmp_le_u32_e32 vcc_lo, s2, v1
	s_delay_alu instid0(VALU_DEP_2) | instskip(NEXT) | instid1(VALU_DEP_1)
	v_add_nc_u32_e32 v2, 1, v0
	v_cndmask_b32_e32 v4, v0, v2, vcc_lo
.LBB2_47:
	s_or_b32 exec_lo, exec_lo, s0
	v_or_b32_e32 v0, 3, v12
	s_mov_b32 s1, 0
	s_and_not1_b32 vcc_lo, exec_lo, s16
	s_delay_alu instid0(VALU_DEP_1) | instskip(NEXT) | instid1(VALU_DEP_1)
	v_cmp_gt_u32_e64 s0, s14, v0
	v_mov_b64_e32 v[0:1], s[0:1]
	s_cbranch_vccnz .LBB2_50
; %bb.48:
	v_mov_b64_e32 v[0:1], s[0:1]
	v_mov_b32_e32 v5, 0
	s_sub_co_i32 s2, 0, s15
.LBB2_49:                               ; =>This Inner Loop Header: Depth=1
	s_add_co_i32 s3, s1, 63
	s_add_co_i32 s1, s1, -1
	s_delay_alu instid0(VALU_DEP_1) | instskip(SKIP_1) | instid1(VALU_DEP_1)
	v_lshlrev_b64_e32 v[2:3], s3, v[4:5]
	s_cmp_lg_u32 s2, s1
	v_not_b32_e32 v6, v3
	s_delay_alu instid0(VALU_DEP_2) | instskip(NEXT) | instid1(VALU_DEP_2)
	v_cmp_gt_i64_e32 vcc_lo, 0, v[2:3]
	v_ashrrev_i32_e32 v2, 31, v6
	s_delay_alu instid0(VALU_DEP_1) | instskip(NEXT) | instid1(VALU_DEP_1)
	v_xor_b32_e32 v3, vcc_lo, v2
	v_and_b32_e32 v0, v3, v0
	v_and_b32_e32 v1, v2, v1
	s_cbranch_scc1 .LBB2_49
.LBB2_50:
	s_delay_alu instid0(VALU_DEP_1) | instskip(NEXT) | instid1(VALU_DEP_1)
	v_dual_cndmask_b32 v0, 0, v0, s0 :: v_dual_cndmask_b32 v1, 0, v1, s0
	v_mbcnt_lo_u32_b32 v2, v0, 0
	s_delay_alu instid0(VALU_DEP_2) | instskip(NEXT) | instid1(VALU_DEP_2)
	v_cmp_ne_u64_e32 vcc_lo, 0, v[0:1]
	v_cmp_eq_u32_e64 s0, 0, v2
	s_and_b32 s0, vcc_lo, s0
	s_delay_alu instid0(SALU_CYCLE_1)
	s_and_b32 exec_lo, exec_lo, s0
	s_cbranch_execz .LBB2_52
; %bb.51:
	v_mov_b32_e32 v5, 0
	v_bcnt_u32_b32 v0, v0, 0
	s_delay_alu instid0(VALU_DEP_2) | instskip(NEXT) | instid1(VALU_DEP_2)
	v_lshl_add_u64 v[2:3], v[4:5], 3, s[8:9]
	v_bcnt_u32_b32 v4, v1, v0
	global_atomic_add_u64 v[2:3], v[4:5], off scope:SCOPE_DEV
.LBB2_52:
	s_endpgm
	.section	.rodata,"a",@progbits
	.p2align	6, 0x0
	.amdhsa_kernel _ZN7rocprim6detail23histogram_global_kernelINS0_24wrapped_histogram_configINS_14default_configElLj1ELj1EEELj1ELj1EPlyNS0_18sample_to_bin_evenIlvEEEEvT2_jjNS0_11fixed_arrayIPT3_XT1_EEENS9_IT4_XT1_EEENS9_IjXT1_EEE
		.amdhsa_group_segment_fixed_size 0
		.amdhsa_private_segment_fixed_size 0
		.amdhsa_kernarg_size 60
		.amdhsa_user_sgpr_count 2
		.amdhsa_user_sgpr_dispatch_ptr 0
		.amdhsa_user_sgpr_queue_ptr 0
		.amdhsa_user_sgpr_kernarg_segment_ptr 1
		.amdhsa_user_sgpr_dispatch_id 0
		.amdhsa_user_sgpr_kernarg_preload_length 0
		.amdhsa_user_sgpr_kernarg_preload_offset 0
		.amdhsa_user_sgpr_private_segment_size 0
		.amdhsa_wavefront_size32 1
		.amdhsa_uses_dynamic_stack 0
		.amdhsa_enable_private_segment 0
		.amdhsa_system_sgpr_workgroup_id_x 1
		.amdhsa_system_sgpr_workgroup_id_y 1
		.amdhsa_system_sgpr_workgroup_id_z 0
		.amdhsa_system_sgpr_workgroup_info 0
		.amdhsa_system_vgpr_workitem_id 0
		.amdhsa_next_free_vgpr 24
		.amdhsa_next_free_sgpr 29
		.amdhsa_named_barrier_count 0
		.amdhsa_reserve_vcc 1
		.amdhsa_float_round_mode_32 0
		.amdhsa_float_round_mode_16_64 0
		.amdhsa_float_denorm_mode_32 3
		.amdhsa_float_denorm_mode_16_64 3
		.amdhsa_fp16_overflow 0
		.amdhsa_memory_ordered 1
		.amdhsa_forward_progress 1
		.amdhsa_inst_pref_size 36
		.amdhsa_round_robin_scheduling 0
		.amdhsa_exception_fp_ieee_invalid_op 0
		.amdhsa_exception_fp_denorm_src 0
		.amdhsa_exception_fp_ieee_div_zero 0
		.amdhsa_exception_fp_ieee_overflow 0
		.amdhsa_exception_fp_ieee_underflow 0
		.amdhsa_exception_fp_ieee_inexact 0
		.amdhsa_exception_int_div_zero 0
	.end_amdhsa_kernel
	.section	.text._ZN7rocprim6detail23histogram_global_kernelINS0_24wrapped_histogram_configINS_14default_configElLj1ELj1EEELj1ELj1EPlyNS0_18sample_to_bin_evenIlvEEEEvT2_jjNS0_11fixed_arrayIPT3_XT1_EEENS9_IT4_XT1_EEENS9_IjXT1_EEE,"axG",@progbits,_ZN7rocprim6detail23histogram_global_kernelINS0_24wrapped_histogram_configINS_14default_configElLj1ELj1EEELj1ELj1EPlyNS0_18sample_to_bin_evenIlvEEEEvT2_jjNS0_11fixed_arrayIPT3_XT1_EEENS9_IT4_XT1_EEENS9_IjXT1_EEE,comdat
.Lfunc_end2:
	.size	_ZN7rocprim6detail23histogram_global_kernelINS0_24wrapped_histogram_configINS_14default_configElLj1ELj1EEELj1ELj1EPlyNS0_18sample_to_bin_evenIlvEEEEvT2_jjNS0_11fixed_arrayIPT3_XT1_EEENS9_IT4_XT1_EEENS9_IjXT1_EEE, .Lfunc_end2-_ZN7rocprim6detail23histogram_global_kernelINS0_24wrapped_histogram_configINS_14default_configElLj1ELj1EEELj1ELj1EPlyNS0_18sample_to_bin_evenIlvEEEEvT2_jjNS0_11fixed_arrayIPT3_XT1_EEENS9_IT4_XT1_EEENS9_IjXT1_EEE
                                        ; -- End function
	.set _ZN7rocprim6detail23histogram_global_kernelINS0_24wrapped_histogram_configINS_14default_configElLj1ELj1EEELj1ELj1EPlyNS0_18sample_to_bin_evenIlvEEEEvT2_jjNS0_11fixed_arrayIPT3_XT1_EEENS9_IT4_XT1_EEENS9_IjXT1_EEE.num_vgpr, 24
	.set _ZN7rocprim6detail23histogram_global_kernelINS0_24wrapped_histogram_configINS_14default_configElLj1ELj1EEELj1ELj1EPlyNS0_18sample_to_bin_evenIlvEEEEvT2_jjNS0_11fixed_arrayIPT3_XT1_EEENS9_IT4_XT1_EEENS9_IjXT1_EEE.num_agpr, 0
	.set _ZN7rocprim6detail23histogram_global_kernelINS0_24wrapped_histogram_configINS_14default_configElLj1ELj1EEELj1ELj1EPlyNS0_18sample_to_bin_evenIlvEEEEvT2_jjNS0_11fixed_arrayIPT3_XT1_EEENS9_IT4_XT1_EEENS9_IjXT1_EEE.numbered_sgpr, 29
	.set _ZN7rocprim6detail23histogram_global_kernelINS0_24wrapped_histogram_configINS_14default_configElLj1ELj1EEELj1ELj1EPlyNS0_18sample_to_bin_evenIlvEEEEvT2_jjNS0_11fixed_arrayIPT3_XT1_EEENS9_IT4_XT1_EEENS9_IjXT1_EEE.num_named_barrier, 0
	.set _ZN7rocprim6detail23histogram_global_kernelINS0_24wrapped_histogram_configINS_14default_configElLj1ELj1EEELj1ELj1EPlyNS0_18sample_to_bin_evenIlvEEEEvT2_jjNS0_11fixed_arrayIPT3_XT1_EEENS9_IT4_XT1_EEENS9_IjXT1_EEE.private_seg_size, 0
	.set _ZN7rocprim6detail23histogram_global_kernelINS0_24wrapped_histogram_configINS_14default_configElLj1ELj1EEELj1ELj1EPlyNS0_18sample_to_bin_evenIlvEEEEvT2_jjNS0_11fixed_arrayIPT3_XT1_EEENS9_IT4_XT1_EEENS9_IjXT1_EEE.uses_vcc, 1
	.set _ZN7rocprim6detail23histogram_global_kernelINS0_24wrapped_histogram_configINS_14default_configElLj1ELj1EEELj1ELj1EPlyNS0_18sample_to_bin_evenIlvEEEEvT2_jjNS0_11fixed_arrayIPT3_XT1_EEENS9_IT4_XT1_EEENS9_IjXT1_EEE.uses_flat_scratch, 0
	.set _ZN7rocprim6detail23histogram_global_kernelINS0_24wrapped_histogram_configINS_14default_configElLj1ELj1EEELj1ELj1EPlyNS0_18sample_to_bin_evenIlvEEEEvT2_jjNS0_11fixed_arrayIPT3_XT1_EEENS9_IT4_XT1_EEENS9_IjXT1_EEE.has_dyn_sized_stack, 0
	.set _ZN7rocprim6detail23histogram_global_kernelINS0_24wrapped_histogram_configINS_14default_configElLj1ELj1EEELj1ELj1EPlyNS0_18sample_to_bin_evenIlvEEEEvT2_jjNS0_11fixed_arrayIPT3_XT1_EEENS9_IT4_XT1_EEENS9_IjXT1_EEE.has_recursion, 0
	.set _ZN7rocprim6detail23histogram_global_kernelINS0_24wrapped_histogram_configINS_14default_configElLj1ELj1EEELj1ELj1EPlyNS0_18sample_to_bin_evenIlvEEEEvT2_jjNS0_11fixed_arrayIPT3_XT1_EEENS9_IT4_XT1_EEENS9_IjXT1_EEE.has_indirect_call, 0
	.section	.AMDGPU.csdata,"",@progbits
; Kernel info:
; codeLenInByte = 4540
; TotalNumSgprs: 31
; NumVgprs: 24
; ScratchSize: 0
; MemoryBound: 1
; FloatMode: 240
; IeeeMode: 1
; LDSByteSize: 0 bytes/workgroup (compile time only)
; SGPRBlocks: 0
; VGPRBlocks: 1
; NumSGPRsForWavesPerEU: 31
; NumVGPRsForWavesPerEU: 24
; NamedBarCnt: 0
; Occupancy: 16
; WaveLimiterHint : 1
; COMPUTE_PGM_RSRC2:SCRATCH_EN: 0
; COMPUTE_PGM_RSRC2:USER_SGPR: 2
; COMPUTE_PGM_RSRC2:TRAP_HANDLER: 0
; COMPUTE_PGM_RSRC2:TGID_X_EN: 1
; COMPUTE_PGM_RSRC2:TGID_Y_EN: 1
; COMPUTE_PGM_RSRC2:TGID_Z_EN: 0
; COMPUTE_PGM_RSRC2:TIDIG_COMP_CNT: 0
	.section	.text._ZN8rajaperf9algorithm24histogram_atomic_runtimeILl256EEEvPyPlllll,"axG",@progbits,_ZN8rajaperf9algorithm24histogram_atomic_runtimeILl256EEEvPyPlllll,comdat
	.protected	_ZN8rajaperf9algorithm24histogram_atomic_runtimeILl256EEEvPyPlllll ; -- Begin function _ZN8rajaperf9algorithm24histogram_atomic_runtimeILl256EEEvPyPlllll
	.globl	_ZN8rajaperf9algorithm24histogram_atomic_runtimeILl256EEEvPyPlllll
	.p2align	8
	.type	_ZN8rajaperf9algorithm24histogram_atomic_runtimeILl256EEEvPyPlllll,@function
_ZN8rajaperf9algorithm24histogram_atomic_runtimeILl256EEEvPyPlllll: ; @_ZN8rajaperf9algorithm24histogram_atomic_runtimeILl256EEEvPyPlllll
; %bb.0:
	s_clause 0x1
	s_load_b128 s[12:15], s[0:1], 0x20
	s_load_b256 s[4:11], s[0:1], 0x0
	s_mov_b32 s3, -1
	s_getreg_b32 s22, hwreg(HW_REG_IB_STS2, 6, 4)
	s_wait_kmcnt 0x0
	v_cmp_lt_i64_e64 s2, s[12:13], 1
	s_and_b32 vcc_lo, exec_lo, s2
	s_cbranch_vccz .LBB3_5
; %bb.1:
	s_bfe_u32 s2, ttmp6, 0x4000c
	s_and_b32 s3, ttmp6, 15
	s_add_co_i32 s2, s2, 1
	s_mov_b32 s23, exec_lo
	s_mul_i32 s2, ttmp9, s2
	s_delay_alu instid0(SALU_CYCLE_1) | instskip(SKIP_3) | instid1(SALU_CYCLE_1)
	s_add_co_i32 s2, s3, s2
	s_cmp_eq_u32 s22, 0
	s_mov_b32 s3, 0
	s_cselect_b32 s2, ttmp9, s2
	s_lshl_b64 s[16:17], s[2:3], 8
	s_delay_alu instid0(SALU_CYCLE_1) | instskip(NEXT) | instid1(VALU_DEP_1)
	v_dual_mov_b32 v3, s17 :: v_dual_bitop2_b32 v2, s16, v0 bitop3:0x54
	v_cmpx_gt_i64_e64 s[8:9], v[2:3]
	s_cbranch_execz .LBB3_4
; %bb.2:
	v_lshrrev_b64 v[4:5], 6, v[2:3]
	s_add_nc_u64 s[16:17], s[14:15], -1
	v_lshlrev_b32_e32 v6, 3, v0
	s_lshl_b64 s[18:19], s[2:3], 11
	v_mov_b32_e32 v7, 0
	s_add_nc_u64 s[18:19], s[6:7], s[18:19]
	s_delay_alu instid0(VALU_DEP_3) | instskip(SKIP_4) | instid1(VALU_DEP_2)
	v_and_b32_e32 v5, s17, v5
	v_and_b32_e32 v4, s16, v4
	s_load_b32 s16, s[0:1], 0x30
	s_mov_b32 s17, 0
	v_add_nc_u64_e32 v[6:7], s[18:19], v[6:7]
	v_mul_u64_e32 v[8:9], s[10:11], v[4:5]
	v_mov_b64_e32 v[4:5], 1
	s_wait_kmcnt 0x0
	s_lshl_b64 s[18:19], s[16:17], 8
	s_lshl_b64 s[20:21], s[16:17], 11
	s_delay_alu instid0(VALU_DEP_2)
	v_lshl_add_u64 v[8:9], v[8:9], 3, s[4:5]
.LBB3_3:                                ; =>This Inner Loop Header: Depth=1
	global_load_b64 v[10:11], v[6:7], off
	v_add_nc_u64_e32 v[2:3], s[18:19], v[2:3]
	s_wait_xcnt 0x0
	v_add_nc_u64_e32 v[6:7], s[20:21], v[6:7]
	s_delay_alu instid0(VALU_DEP_2)
	v_cmp_le_i64_e32 vcc_lo, s[8:9], v[2:3]
	s_or_b32 s17, vcc_lo, s17
	s_wait_loadcnt 0x0
	v_lshl_add_u64 v[10:11], v[10:11], 3, v[8:9]
	global_atomic_add_u64 v[10:11], v[4:5], off scope:SCOPE_DEV
	s_wait_xcnt 0x0
	s_and_not1_b32 exec_lo, exec_lo, s17
	s_cbranch_execnz .LBB3_3
.LBB3_4:
	s_or_b32 exec_lo, exec_lo, s23
.LBB3_5:
	s_delay_alu instid0(SALU_CYCLE_1)
	s_and_not1_b32 vcc_lo, exec_lo, s3
	s_cbranch_vccnz .LBB3_19
; %bb.6:
	v_mov_b32_e32 v1, 0
	s_mul_u64 s[2:3], s[12:13], s[10:11]
	s_mov_b32 s15, exec_lo
	s_delay_alu instid0(VALU_DEP_1)
	v_cmpx_gt_i64_e64 s[2:3], v[0:1]
	s_cbranch_execz .LBB3_9
; %bb.7:
	v_mov_b64_e32 v[2:3], 0
	v_mov_b64_e32 v[4:5], v[0:1]
	v_lshl_add_u32 v6, v0, 3, 0
	s_mov_b32 s16, 0
.LBB3_8:                                ; =>This Inner Loop Header: Depth=1
	s_delay_alu instid0(VALU_DEP_2) | instskip(SKIP_4) | instid1(SALU_CYCLE_1)
	v_add_nc_u64_e32 v[4:5], 0x100, v[4:5]
	ds_store_b64 v6, v[2:3]
	v_add_nc_u32_e32 v6, 0x800, v6
	v_cmp_le_i64_e32 vcc_lo, s[2:3], v[4:5]
	s_or_b32 s16, vcc_lo, s16
	s_and_not1_b32 exec_lo, exec_lo, s16
	s_cbranch_execnz .LBB3_8
.LBB3_9:
	s_or_b32 exec_lo, exec_lo, s15
	s_bfe_u32 s2, ttmp6, 0x4000c
	s_and_b32 s3, ttmp6, 15
	s_add_co_i32 s2, s2, 1
	s_mov_b32 s15, exec_lo
	s_mul_i32 s2, ttmp9, s2
	s_wait_storecnt_dscnt 0x0
	s_add_co_i32 s2, s3, s2
	s_cmp_eq_u32 s22, 0
	s_mov_b32 s3, 0
	s_cselect_b32 s2, ttmp9, s2
	s_barrier_signal -1
	s_lshl_b64 s[16:17], s[2:3], 8
	s_barrier_wait -1
	v_dual_mov_b32 v3, s17 :: v_dual_bitop2_b32 v2, s16, v0 bitop3:0x54
	s_delay_alu instid0(VALU_DEP_1)
	v_cmpx_gt_i64_e64 s[8:9], v[2:3]
	s_cbranch_execz .LBB3_12
; %bb.10:
	s_load_b32 s16, s[0:1], 0x30
	s_add_co_i32 s17, s12, -1
	v_dual_mov_b32 v7, 0 :: v_dual_lshlrev_b32 v6, 3, v0
	s_wait_xcnt 0x0
	s_lshl_b64 s[0:1], s[2:3], 11
	v_and_b32_e32 v8, s17, v0
	s_add_nc_u64 s[0:1], s[6:7], s[0:1]
	v_mov_b64_e32 v[4:5], 1
	v_add_nc_u64_e32 v[6:7], s[0:1], v[6:7]
	s_mov_b32 s17, s3
	v_lshl_add_u32 v8, v8, 3, 0
	s_wait_kmcnt 0x0
	s_lshl_b64 s[0:1], s[16:17], 8
	s_lshl_b64 s[6:7], s[16:17], 11
	s_mov_b32 s16, s3
.LBB3_11:                               ; =>This Inner Loop Header: Depth=1
	global_load_b32 v9, v[6:7], off
	v_add_nc_u64_e32 v[2:3], s[0:1], v[2:3]
	s_wait_xcnt 0x0
	v_add_nc_u64_e32 v[6:7], s[6:7], v[6:7]
	s_delay_alu instid0(VALU_DEP_2) | instskip(SKIP_3) | instid1(VALU_DEP_1)
	v_cmp_le_i64_e32 vcc_lo, s[8:9], v[2:3]
	s_or_b32 s16, vcc_lo, s16
	s_wait_loadcnt 0x0
	v_mul_lo_u32 v9, v9, s12
	v_lshl_add_u32 v9, v9, 3, v8
	ds_add_u64 v9, v[4:5]
	s_and_not1_b32 exec_lo, exec_lo, s16
	s_cbranch_execnz .LBB3_11
.LBB3_12:
	s_or_b32 exec_lo, exec_lo, s15
	s_wait_dscnt 0x0
	s_barrier_signal -1
	s_barrier_wait -1
	s_mov_b32 s0, exec_lo
	v_cmpx_gt_i64_e64 s[10:11], v[0:1]
	s_cbranch_execz .LBB3_19
; %bb.13:
	s_add_co_i32 s0, s14, -1
	s_delay_alu instid0(SALU_CYCLE_1) | instskip(SKIP_2) | instid1(SALU_CYCLE_1)
	s_and_b64 s[0:1], s[0:1], s[2:3]
	s_mov_b64 s[2:3], 0xffffffff
	s_mul_u64 s[0:1], s[0:1], s[10:11]
	s_lshl_b64 s[6:7], s[0:1], 3
	s_add_nc_u64 s[0:1], s[12:13], s[2:3]
	s_add_nc_u64 s[2:3], s[4:5], s[6:7]
	s_mov_b32 s1, 0
	s_branch .LBB3_15
.LBB3_14:                               ;   in Loop: Header=BB3_15 Depth=1
	s_wait_xcnt 0x0
	s_or_b32 exec_lo, exec_lo, s4
	v_add_nc_u64_e32 v[0:1], 0x100, v[0:1]
	s_delay_alu instid0(VALU_DEP_1) | instskip(SKIP_1) | instid1(SALU_CYCLE_1)
	v_cmp_le_i64_e32 vcc_lo, s[10:11], v[0:1]
	s_or_b32 s1, vcc_lo, s1
	s_and_not1_b32 exec_lo, exec_lo, s1
	s_cbranch_execz .LBB3_19
.LBB3_15:                               ; =>This Loop Header: Depth=1
                                        ;     Child Loop BB3_16 Depth 2
	v_mul_lo_u32 v4, v0, s12
	v_mov_b64_e32 v[2:3], 0
	s_mov_b64 s[4:5], 0
	s_delay_alu instid0(VALU_DEP_2)
	v_lshl_add_u32 v4, v4, 3, 0
.LBB3_16:                               ;   Parent Loop BB3_15 Depth=1
                                        ; =>  This Inner Loop Header: Depth=2
	s_and_b32 s6, s4, s0
	s_add_nc_u64 s[4:5], s[4:5], 1
	s_delay_alu instid0(VALU_DEP_1)
	v_lshl_add_u32 v5, s6, 3, v4
	s_cmp_eq_u64 s[12:13], s[4:5]
	ds_load_b64 v[6:7], v5
	s_wait_dscnt 0x0
	v_add_nc_u64_e32 v[2:3], v[6:7], v[2:3]
	s_cbranch_scc0 .LBB3_16
; %bb.17:                               ;   in Loop: Header=BB3_15 Depth=1
	s_mov_b32 s4, exec_lo
	s_delay_alu instid0(VALU_DEP_1)
	v_cmpx_ne_u64_e32 0, v[2:3]
	s_cbranch_execz .LBB3_14
; %bb.18:                               ;   in Loop: Header=BB3_15 Depth=1
	v_lshl_add_u64 v[4:5], v[0:1], 3, s[2:3]
	global_atomic_add_u64 v[4:5], v[2:3], off scope:SCOPE_DEV
	s_branch .LBB3_14
.LBB3_19:
	s_endpgm
	.section	.rodata,"a",@progbits
	.p2align	6, 0x0
	.amdhsa_kernel _ZN8rajaperf9algorithm24histogram_atomic_runtimeILl256EEEvPyPlllll
		.amdhsa_group_segment_fixed_size 0
		.amdhsa_private_segment_fixed_size 0
		.amdhsa_kernarg_size 304
		.amdhsa_user_sgpr_count 2
		.amdhsa_user_sgpr_dispatch_ptr 0
		.amdhsa_user_sgpr_queue_ptr 0
		.amdhsa_user_sgpr_kernarg_segment_ptr 1
		.amdhsa_user_sgpr_dispatch_id 0
		.amdhsa_user_sgpr_kernarg_preload_length 0
		.amdhsa_user_sgpr_kernarg_preload_offset 0
		.amdhsa_user_sgpr_private_segment_size 0
		.amdhsa_wavefront_size32 1
		.amdhsa_uses_dynamic_stack 0
		.amdhsa_enable_private_segment 0
		.amdhsa_system_sgpr_workgroup_id_x 1
		.amdhsa_system_sgpr_workgroup_id_y 0
		.amdhsa_system_sgpr_workgroup_id_z 0
		.amdhsa_system_sgpr_workgroup_info 0
		.amdhsa_system_vgpr_workitem_id 0
		.amdhsa_next_free_vgpr 12
		.amdhsa_next_free_sgpr 24
		.amdhsa_named_barrier_count 0
		.amdhsa_reserve_vcc 1
		.amdhsa_float_round_mode_32 0
		.amdhsa_float_round_mode_16_64 0
		.amdhsa_float_denorm_mode_32 3
		.amdhsa_float_denorm_mode_16_64 3
		.amdhsa_fp16_overflow 0
		.amdhsa_memory_ordered 1
		.amdhsa_forward_progress 1
		.amdhsa_inst_pref_size 7
		.amdhsa_round_robin_scheduling 0
		.amdhsa_exception_fp_ieee_invalid_op 0
		.amdhsa_exception_fp_denorm_src 0
		.amdhsa_exception_fp_ieee_div_zero 0
		.amdhsa_exception_fp_ieee_overflow 0
		.amdhsa_exception_fp_ieee_underflow 0
		.amdhsa_exception_fp_ieee_inexact 0
		.amdhsa_exception_int_div_zero 0
	.end_amdhsa_kernel
	.section	.text._ZN8rajaperf9algorithm24histogram_atomic_runtimeILl256EEEvPyPlllll,"axG",@progbits,_ZN8rajaperf9algorithm24histogram_atomic_runtimeILl256EEEvPyPlllll,comdat
.Lfunc_end3:
	.size	_ZN8rajaperf9algorithm24histogram_atomic_runtimeILl256EEEvPyPlllll, .Lfunc_end3-_ZN8rajaperf9algorithm24histogram_atomic_runtimeILl256EEEvPyPlllll
                                        ; -- End function
	.set _ZN8rajaperf9algorithm24histogram_atomic_runtimeILl256EEEvPyPlllll.num_vgpr, 12
	.set _ZN8rajaperf9algorithm24histogram_atomic_runtimeILl256EEEvPyPlllll.num_agpr, 0
	.set _ZN8rajaperf9algorithm24histogram_atomic_runtimeILl256EEEvPyPlllll.numbered_sgpr, 24
	.set _ZN8rajaperf9algorithm24histogram_atomic_runtimeILl256EEEvPyPlllll.num_named_barrier, 0
	.set _ZN8rajaperf9algorithm24histogram_atomic_runtimeILl256EEEvPyPlllll.private_seg_size, 0
	.set _ZN8rajaperf9algorithm24histogram_atomic_runtimeILl256EEEvPyPlllll.uses_vcc, 1
	.set _ZN8rajaperf9algorithm24histogram_atomic_runtimeILl256EEEvPyPlllll.uses_flat_scratch, 0
	.set _ZN8rajaperf9algorithm24histogram_atomic_runtimeILl256EEEvPyPlllll.has_dyn_sized_stack, 0
	.set _ZN8rajaperf9algorithm24histogram_atomic_runtimeILl256EEEvPyPlllll.has_recursion, 0
	.set _ZN8rajaperf9algorithm24histogram_atomic_runtimeILl256EEEvPyPlllll.has_indirect_call, 0
	.section	.AMDGPU.csdata,"",@progbits
; Kernel info:
; codeLenInByte = 852
; TotalNumSgprs: 26
; NumVgprs: 12
; ScratchSize: 0
; MemoryBound: 0
; FloatMode: 240
; IeeeMode: 1
; LDSByteSize: 0 bytes/workgroup (compile time only)
; SGPRBlocks: 0
; VGPRBlocks: 0
; NumSGPRsForWavesPerEU: 26
; NumVGPRsForWavesPerEU: 12
; NamedBarCnt: 0
; Occupancy: 16
; WaveLimiterHint : 1
; COMPUTE_PGM_RSRC2:SCRATCH_EN: 0
; COMPUTE_PGM_RSRC2:USER_SGPR: 2
; COMPUTE_PGM_RSRC2:TRAP_HANDLER: 0
; COMPUTE_PGM_RSRC2:TGID_X_EN: 1
; COMPUTE_PGM_RSRC2:TGID_Y_EN: 0
; COMPUTE_PGM_RSRC2:TGID_Z_EN: 0
; COMPUTE_PGM_RSRC2:TIDIG_COMP_CNT: 0
	.section	.text._ZN4RAJA6policy3hip4impl18forallp_hip_kernelINS1_8hip_execINS_17iteration_mapping6DirectENS_3hip11IndexGlobalILNS_9named_dimE0ELi256ELi0EEENS7_40AvoidDeviceMaxThreadOccupancyConcretizerINS7_34FractionOffsetOccupancyConcretizerINS_8FractionImLm1ELm1EEELln1EEEEELb1EEENS_9Iterators16numeric_iteratorIllPlEEZN8rajaperf9algorithm9HISTOGRAM26runHipVariantAtomicRuntimeILl256ELl32ELl4ENSM_11gpu_mapping20global_direct_helperEEEvNSM_9VariantIDEEUllE_lNS_4expt15ForallParamPackIJEEES6_SA_TnNSt9enable_ifIXaasr3std10is_base_ofINS5_10DirectBaseET4_EE5valuegtsrT5_10block_sizeLi0EEmE4typeELm256EEEvT1_T0_T2_T3_,"axG",@progbits,_ZN4RAJA6policy3hip4impl18forallp_hip_kernelINS1_8hip_execINS_17iteration_mapping6DirectENS_3hip11IndexGlobalILNS_9named_dimE0ELi256ELi0EEENS7_40AvoidDeviceMaxThreadOccupancyConcretizerINS7_34FractionOffsetOccupancyConcretizerINS_8FractionImLm1ELm1EEELln1EEEEELb1EEENS_9Iterators16numeric_iteratorIllPlEEZN8rajaperf9algorithm9HISTOGRAM26runHipVariantAtomicRuntimeILl256ELl32ELl4ENSM_11gpu_mapping20global_direct_helperEEEvNSM_9VariantIDEEUllE_lNS_4expt15ForallParamPackIJEEES6_SA_TnNSt9enable_ifIXaasr3std10is_base_ofINS5_10DirectBaseET4_EE5valuegtsrT5_10block_sizeLi0EEmE4typeELm256EEEvT1_T0_T2_T3_,comdat
	.protected	_ZN4RAJA6policy3hip4impl18forallp_hip_kernelINS1_8hip_execINS_17iteration_mapping6DirectENS_3hip11IndexGlobalILNS_9named_dimE0ELi256ELi0EEENS7_40AvoidDeviceMaxThreadOccupancyConcretizerINS7_34FractionOffsetOccupancyConcretizerINS_8FractionImLm1ELm1EEELln1EEEEELb1EEENS_9Iterators16numeric_iteratorIllPlEEZN8rajaperf9algorithm9HISTOGRAM26runHipVariantAtomicRuntimeILl256ELl32ELl4ENSM_11gpu_mapping20global_direct_helperEEEvNSM_9VariantIDEEUllE_lNS_4expt15ForallParamPackIJEEES6_SA_TnNSt9enable_ifIXaasr3std10is_base_ofINS5_10DirectBaseET4_EE5valuegtsrT5_10block_sizeLi0EEmE4typeELm256EEEvT1_T0_T2_T3_ ; -- Begin function _ZN4RAJA6policy3hip4impl18forallp_hip_kernelINS1_8hip_execINS_17iteration_mapping6DirectENS_3hip11IndexGlobalILNS_9named_dimE0ELi256ELi0EEENS7_40AvoidDeviceMaxThreadOccupancyConcretizerINS7_34FractionOffsetOccupancyConcretizerINS_8FractionImLm1ELm1EEELln1EEEEELb1EEENS_9Iterators16numeric_iteratorIllPlEEZN8rajaperf9algorithm9HISTOGRAM26runHipVariantAtomicRuntimeILl256ELl32ELl4ENSM_11gpu_mapping20global_direct_helperEEEvNSM_9VariantIDEEUllE_lNS_4expt15ForallParamPackIJEEES6_SA_TnNSt9enable_ifIXaasr3std10is_base_ofINS5_10DirectBaseET4_EE5valuegtsrT5_10block_sizeLi0EEmE4typeELm256EEEvT1_T0_T2_T3_
	.globl	_ZN4RAJA6policy3hip4impl18forallp_hip_kernelINS1_8hip_execINS_17iteration_mapping6DirectENS_3hip11IndexGlobalILNS_9named_dimE0ELi256ELi0EEENS7_40AvoidDeviceMaxThreadOccupancyConcretizerINS7_34FractionOffsetOccupancyConcretizerINS_8FractionImLm1ELm1EEELln1EEEEELb1EEENS_9Iterators16numeric_iteratorIllPlEEZN8rajaperf9algorithm9HISTOGRAM26runHipVariantAtomicRuntimeILl256ELl32ELl4ENSM_11gpu_mapping20global_direct_helperEEEvNSM_9VariantIDEEUllE_lNS_4expt15ForallParamPackIJEEES6_SA_TnNSt9enable_ifIXaasr3std10is_base_ofINS5_10DirectBaseET4_EE5valuegtsrT5_10block_sizeLi0EEmE4typeELm256EEEvT1_T0_T2_T3_
	.p2align	8
	.type	_ZN4RAJA6policy3hip4impl18forallp_hip_kernelINS1_8hip_execINS_17iteration_mapping6DirectENS_3hip11IndexGlobalILNS_9named_dimE0ELi256ELi0EEENS7_40AvoidDeviceMaxThreadOccupancyConcretizerINS7_34FractionOffsetOccupancyConcretizerINS_8FractionImLm1ELm1EEELln1EEEEELb1EEENS_9Iterators16numeric_iteratorIllPlEEZN8rajaperf9algorithm9HISTOGRAM26runHipVariantAtomicRuntimeILl256ELl32ELl4ENSM_11gpu_mapping20global_direct_helperEEEvNSM_9VariantIDEEUllE_lNS_4expt15ForallParamPackIJEEES6_SA_TnNSt9enable_ifIXaasr3std10is_base_ofINS5_10DirectBaseET4_EE5valuegtsrT5_10block_sizeLi0EEmE4typeELm256EEEvT1_T0_T2_T3_,@function
_ZN4RAJA6policy3hip4impl18forallp_hip_kernelINS1_8hip_execINS_17iteration_mapping6DirectENS_3hip11IndexGlobalILNS_9named_dimE0ELi256ELi0EEENS7_40AvoidDeviceMaxThreadOccupancyConcretizerINS7_34FractionOffsetOccupancyConcretizerINS_8FractionImLm1ELm1EEELln1EEEEELb1EEENS_9Iterators16numeric_iteratorIllPlEEZN8rajaperf9algorithm9HISTOGRAM26runHipVariantAtomicRuntimeILl256ELl32ELl4ENSM_11gpu_mapping20global_direct_helperEEEvNSM_9VariantIDEEUllE_lNS_4expt15ForallParamPackIJEEES6_SA_TnNSt9enable_ifIXaasr3std10is_base_ofINS5_10DirectBaseET4_EE5valuegtsrT5_10block_sizeLi0EEmE4typeELm256EEEvT1_T0_T2_T3_: ; @_ZN4RAJA6policy3hip4impl18forallp_hip_kernelINS1_8hip_execINS_17iteration_mapping6DirectENS_3hip11IndexGlobalILNS_9named_dimE0ELi256ELi0EEENS7_40AvoidDeviceMaxThreadOccupancyConcretizerINS7_34FractionOffsetOccupancyConcretizerINS_8FractionImLm1ELm1EEELln1EEEEELb1EEENS_9Iterators16numeric_iteratorIllPlEEZN8rajaperf9algorithm9HISTOGRAM26runHipVariantAtomicRuntimeILl256ELl32ELl4ENSM_11gpu_mapping20global_direct_helperEEEvNSM_9VariantIDEEUllE_lNS_4expt15ForallParamPackIJEEES6_SA_TnNSt9enable_ifIXaasr3std10is_base_ofINS5_10DirectBaseET4_EE5valuegtsrT5_10block_sizeLi0EEmE4typeELm256EEEvT1_T0_T2_T3_
; %bb.0:
	s_clause 0x4
	s_load_b64 s[16:17], s[0:1], 0x0
	s_load_b64 s[2:3], s[0:1], 0x50
	s_load_b256 s[4:11], s[0:1], 0x10
	s_load_b128 s[12:15], s[0:1], 0x40
	s_load_b32 s18, s[0:1], 0x30
	s_wait_kmcnt 0x0
	s_cmp_eq_u64 s[16:17], 0
	s_cselect_b32 s20, -1, 0
	s_cmp_lg_u64 s[16:17], 0
	s_cbranch_scc1 .LBB4_6
; %bb.1:
	s_cmp_eq_u32 s11, 0x7ffffffe
	s_cselect_b32 s16, -1, 0
	s_cmp_eq_u32 0, -1
	s_cselect_b32 s17, -1, 0
	s_delay_alu instid0(SALU_CYCLE_1) | instskip(NEXT) | instid1(SALU_CYCLE_1)
	s_or_b32 s16, s16, s17
	s_and_b32 vcc_lo, exec_lo, s16
	s_cbranch_vccnz .LBB4_6
; %bb.2:
	s_load_b32 s16, s[0:1], 0x6c
	v_and_b32_e32 v1, 0x3ff, v0
	v_bfe_u32 v2, v0, 10, 10
	s_wait_kmcnt 0x0
	s_and_b32 s17, s16, 0xffff
	s_lshr_b32 s19, s16, 16
	s_delay_alu instid0(VALU_DEP_1) | instskip(SKIP_4) | instid1(VALU_DEP_1)
	v_mad_u32_u24 v1, v2, s17, v1
	v_bfe_u32 v2, v0, 20, 10
	s_mul_i32 s19, s19, s17
	s_mul_i32 s16, s18, s8
	s_mov_b32 s17, exec_lo
	v_mad_u32 v1, s19, v2, v1
	s_delay_alu instid0(VALU_DEP_1)
	v_cmpx_gt_i32_e64 s16, v1
	s_cbranch_execz .LBB4_5
; %bb.3:
	s_load_b32 s21, s[0:1], 0x70
	v_lshlrev_b32_e32 v2, 3, v1
	s_delay_alu instid0(VALU_DEP_1) | instskip(SKIP_3) | instid1(SALU_CYCLE_1)
	v_add3_u32 v4, 0, s11, v2
	v_mov_b64_e32 v[2:3], s[6:7]
	s_wait_kmcnt 0x0
	s_and_b32 s21, s21, 0xffff
	s_and_b32 s21, s21, 0xffff
	s_delay_alu instid0(SALU_CYCLE_1)
	s_mul_i32 s19, s19, s21
	s_mov_b32 s21, 0
	s_lshl_b32 s22, s19, 3
.LBB4_4:                                ; =>This Inner Loop Header: Depth=1
	v_add_nc_u32_e32 v1, s19, v1
	ds_store_b64 v4, v[2:3]
	v_add_nc_u32_e32 v4, s22, v4
	v_cmp_le_i32_e32 vcc_lo, s16, v1
	s_or_b32 s21, vcc_lo, s21
	s_delay_alu instid0(SALU_CYCLE_1)
	s_and_not1_b32 exec_lo, exec_lo, s21
	s_cbranch_execnz .LBB4_4
.LBB4_5:
	s_or_b32 exec_lo, exec_lo, s17
	s_wait_dscnt 0x0
	s_barrier_signal -1
	s_barrier_wait -1
.LBB4_6:
	s_bfe_u32 s16, ttmp6, 0x4000c
	s_and_b32 s17, ttmp6, 15
	s_add_co_i32 s16, s16, 1
	s_getreg_b32 s19, hwreg(HW_REG_IB_STS2, 6, 4)
	s_mul_i32 s16, ttmp9, s16
	v_and_b32_e32 v1, 0x3ff, v0
	s_add_co_i32 s16, s17, s16
	s_cmp_eq_u32 s19, 0
	s_mov_b32 s17, 0
	s_cselect_b32 s16, ttmp9, s16
	s_delay_alu instid0(SALU_CYCLE_1) | instskip(NEXT) | instid1(SALU_CYCLE_1)
	s_lshl_b64 s[22:23], s[16:17], 8
	v_dual_mov_b32 v3, s23 :: v_dual_bitop2_b32 v2, s22, v1 bitop3:0x54
	s_delay_alu instid0(VALU_DEP_1)
	v_cmp_gt_i64_e32 vcc_lo, s[2:3], v[2:3]
	s_and_saveexec_b32 s3, vcc_lo
	s_cbranch_execz .LBB4_14
; %bb.7:
	v_lshl_add_u64 v[2:3], v[2:3], 3, s[12:13]
	s_cmp_eq_u32 s11, 0x7ffffffe
	s_mov_b32 s13, -1
	s_cselect_b32 s2, -1, 0
	s_cmp_eq_u32 0, -1
	v_lshl_add_u64 v[2:3], s[14:15], 3, v[2:3]
	s_cselect_b32 s12, -1, 0
	s_delay_alu instid0(SALU_CYCLE_1)
	s_or_b32 s2, s2, s12
	s_cmp_lg_u64 s[6:7], 1
	global_load_b32 v2, v[2:3], off
	s_cselect_b32 s12, -1, 0
	s_and_b32 vcc_lo, exec_lo, s2
	s_wait_xcnt 0x0
	v_cndmask_b32_e64 v3, 0, 1, s12
	s_delay_alu instid0(VALU_DEP_1)
	v_cmp_ne_u32_e64 s2, 1, v3
	s_cbranch_vccnz .LBB4_11
; %bb.8:
	s_and_b32 vcc_lo, exec_lo, s2
	s_cbranch_vccnz .LBB4_10
; %bb.9:
	s_load_b32 s2, s[0:1], 0x6c
	v_bfe_u32 v3, v0, 10, 10
	v_bfe_u32 v4, v0, 20, 10
	s_wait_kmcnt 0x0
	s_lshr_b32 s13, s2, 16
	s_and_b32 s2, s2, 0xffff
	s_delay_alu instid0(VALU_DEP_1) | instskip(SKIP_2) | instid1(VALU_DEP_2)
	v_mad_u32_u24 v3, v4, s13, v3
	s_wait_loadcnt 0x0
	v_mul_lo_u32 v4, s18, v2
	v_mad_u32 v3, v3, s2, v1
	s_add_co_i32 s2, s18, -1
	s_delay_alu instid0(VALU_DEP_2) | instskip(SKIP_1) | instid1(VALU_DEP_3)
	v_lshlrev_b32_e32 v6, 3, v4
	v_mov_b64_e32 v[4:5], 1
	v_and_b32_e32 v3, s2, v3
	s_add_co_i32 s2, s11, 0
	s_delay_alu instid0(VALU_DEP_1) | instskip(NEXT) | instid1(VALU_DEP_1)
	v_lshlrev_b32_e32 v3, 3, v3
	v_add3_u32 v3, s2, v3, v6
	ds_add_u64 v3, v[4:5]
.LBB4_10:
	s_mov_b32 s13, 0
.LBB4_11:
	s_delay_alu instid0(SALU_CYCLE_1)
	s_and_not1_b32 vcc_lo, exec_lo, s13
	s_cbranch_vccnz .LBB4_14
; %bb.12:
	s_and_not1_b32 vcc_lo, exec_lo, s12
	s_cbranch_vccnz .LBB4_14
; %bb.13:
	v_mov_b32_e32 v3, 0
	s_add_nc_u64 s[14:15], s[0:1], 0x60
	s_mov_b32 s23, 0
	v_bfe_u32 v5, v0, 10, 10
	v_bfe_u32 v7, v0, 20, 10
	global_load_b32 v3, v3, s[0:1] offset:110
	s_load_b64 s[12:13], s[0:1], 0x60
	s_wait_kmcnt 0x0
	s_cmp_lt_u32 s16, s12
	s_cselect_b32 s22, 12, 18
	s_lshr_b32 s17, ttmp7, 16
	s_add_nc_u64 s[14:15], s[14:15], s[22:23]
	s_bfe_u32 s21, ttmp6, 0x40004
	s_load_u16 s2, s[14:15], 0x0
	s_wait_xcnt 0x0
	s_bfe_u32 s15, ttmp6, 0x40010
	s_and_b32 s14, ttmp7, 0xffff
	s_add_co_i32 s15, s15, 1
	s_bfe_u32 s22, ttmp6, 0x40008
	s_mul_i32 s15, s14, s15
	s_delay_alu instid0(SALU_CYCLE_1) | instskip(SKIP_4) | instid1(VALU_DEP_2)
	s_add_co_i32 s21, s21, s15
	s_wait_loadcnt 0x0
	v_and_b32_e32 v4, 0xffff, v3
	v_lshrrev_b32_e32 v3, 16, v3
	s_wait_kmcnt 0x0
	v_mul_lo_u32 v6, v4, s2
	v_mad_u32_u24 v4, v7, v4, v5
	s_delay_alu instid0(VALU_DEP_1) | instskip(SKIP_1) | instid1(SALU_CYCLE_1)
	v_mad_u32 v4, v4, s2, v1
	s_bfe_u32 s2, ttmp6, 0x40014
	s_add_co_i32 s2, s2, 1
	s_delay_alu instid0(SALU_CYCLE_1) | instskip(NEXT) | instid1(VALU_DEP_3)
	s_mul_i32 s2, s17, s2
	v_mul_lo_u32 v3, v6, v3
	s_add_co_i32 s22, s22, s2
	s_cmp_eq_u32 s19, 0
	s_cselect_b32 s2, s17, s22
	s_delay_alu instid0(VALU_DEP_2) | instskip(SKIP_2) | instid1(SALU_CYCLE_1)
	v_lshrrev_b32_e32 v4, 6, v4
	s_mul_i32 s2, s13, s2
	s_cselect_b32 s13, s14, s21
	s_add_co_i32 s2, s2, s13
	s_delay_alu instid0(VALU_DEP_2) | instskip(SKIP_1) | instid1(SALU_CYCLE_1)
	v_add_nc_u32_e32 v3, 63, v3
	s_mul_i32 s2, s2, s12
	s_add_co_i32 s2, s2, s16
	s_delay_alu instid0(VALU_DEP_1) | instskip(NEXT) | instid1(VALU_DEP_1)
	v_lshrrev_b32_e32 v3, 6, v3
	v_mad_u32 v3, v3, s2, v4
	s_add_co_i32 s2, s10, -1
	s_delay_alu instid0(VALU_DEP_1) | instid1(SALU_CYCLE_1)
	v_and_b32_e32 v3, s2, v3
	s_delay_alu instid0(VALU_DEP_1)
	v_mad_u32 v4, v3, s9, v2
	v_mov_b64_e32 v[2:3], 1
	global_atomic_add_u64 v4, v[2:3], s[4:5] scale_offset scope:SCOPE_DEV
.LBB4_14:
	s_wait_xcnt 0x0
	s_or_b32 exec_lo, exec_lo, s3
	s_delay_alu instid0(SALU_CYCLE_1)
	s_and_not1_b32 vcc_lo, exec_lo, s20
	s_cbranch_vccnz .LBB4_24
; %bb.15:
	s_cmp_eq_u32 s11, 0x7ffffffe
	s_mov_b32 s13, 0
	s_cselect_b32 s2, -1, 0
	s_cmp_eq_u32 0, -1
	s_cselect_b32 s3, -1, 0
	s_delay_alu instid0(SALU_CYCLE_1) | instskip(NEXT) | instid1(SALU_CYCLE_1)
	s_or_b32 s2, s2, s3
	s_and_b32 vcc_lo, exec_lo, s2
	s_cbranch_vccnz .LBB4_24
; %bb.16:
	s_wait_loadcnt 0x0
	v_mov_b32_e32 v2, 0
	s_load_b64 s[2:3], s[0:1], 0x60
	global_load_b32 v3, v2, s[0:1] offset:110
	s_wait_xcnt 0x0
	s_add_nc_u64 s[0:1], s[0:1], 0x60
	v_bfe_u32 v2, v0, 10, 10
	v_bfe_u32 v0, v0, 20, 10
	s_wait_kmcnt 0x0
	s_cmp_lt_u32 s16, s2
	s_cselect_b32 s12, 12, 18
	s_delay_alu instid0(SALU_CYCLE_1)
	s_add_nc_u64 s[0:1], s[0:1], s[12:13]
	s_load_u16 s0, s[0:1], 0x0
	s_wait_storecnt 0x0
	s_wait_loadcnt_dscnt 0x0
	s_barrier_signal -1
	s_barrier_wait -1
	s_wait_xcnt 0x0
	s_mov_b32 s1, exec_lo
	s_wait_kmcnt 0x0
	v_mad_u32_u24 v1, v2, s0, v1
	v_and_b32_e32 v5, 0xffff, v3
	s_delay_alu instid0(VALU_DEP_1) | instskip(NEXT) | instid1(VALU_DEP_1)
	v_mul_lo_u32 v4, v5, s0
	v_mad_u32 v2, v4, v0, v1
	s_delay_alu instid0(VALU_DEP_1)
	v_cmpx_gt_i32_e64 s8, v2
	s_cbranch_execz .LBB4_24
; %bb.17:
	s_mul_i32 s0, s18, s0
	s_bfe_u32 s1, ttmp6, 0x40010
	v_mul_lo_u32 v0, s0, v5
	v_mul_lo_u32 v1, s18, v2
	s_and_b32 s12, ttmp7, 0xffff
	s_add_co_i32 s1, s1, 1
	s_bfe_u32 s14, ttmp6, 0x40014
	s_bfe_u32 s13, ttmp6, 0x40004
	s_mul_i32 s1, s12, s1
	s_lshr_b32 s15, ttmp7, 16
	s_add_co_i32 s14, s14, 1
	s_add_co_i32 s13, s13, s1
	s_mul_i32 s1, s15, s14
	s_bfe_u32 s14, ttmp6, 0x40008
	v_dual_lshrrev_b32 v3, 16, v3 :: v_dual_lshlrev_b32 v1, 3, v1
	s_add_co_i32 s14, s14, s1
	s_cmp_eq_u32 s19, 0
	s_cselect_b32 s0, s15, s14
	s_delay_alu instid0(VALU_DEP_1)
	v_mul_lo_u32 v0, v0, v3
	s_mul_i32 s0, s3, s0
	s_cselect_b32 s1, s12, s13
	v_mul_lo_u32 v3, v4, v3
	s_add_co_i32 s0, s0, s1
	v_add3_u32 v4, 0, s11, v1
	s_mul_i32 s0, s0, s2
	s_delay_alu instid0(SALU_CYCLE_1)
	s_add_co_i32 s1, s0, s16
	s_cmp_gt_i32 s18, 0
	s_cselect_b32 s0, -1, 0
	s_add_co_i32 s2, s10, -1
	v_lshlrev_b32_e32 v5, 3, v0
	s_and_b32 s2, s1, s2
	s_mov_b32 s1, 0
	s_mul_i32 s2, s2, s9
	s_branch .LBB4_19
.LBB4_18:                               ;   in Loop: Header=BB4_19 Depth=1
	s_wait_xcnt 0x0
	s_or_b32 exec_lo, exec_lo, s3
	v_dual_add_nc_u32 v2, v2, v3 :: v_dual_add_nc_u32 v4, v4, v5
	s_delay_alu instid0(VALU_DEP_1) | instskip(SKIP_1) | instid1(SALU_CYCLE_1)
	v_cmp_le_i32_e32 vcc_lo, s8, v2
	s_or_b32 s1, vcc_lo, s1
	s_and_not1_b32 exec_lo, exec_lo, s1
	s_cbranch_execz .LBB4_24
.LBB4_19:                               ; =>This Loop Header: Depth=1
                                        ;     Child Loop BB4_21 Depth 2
	v_mov_b64_e32 v[0:1], s[6:7]
	s_and_not1_b32 vcc_lo, exec_lo, s0
	s_cbranch_vccnz .LBB4_22
; %bb.20:                               ;   in Loop: Header=BB4_19 Depth=1
	v_mov_b64_e32 v[0:1], s[6:7]
	v_mov_b32_e32 v6, v4
	s_mov_b32 s3, s18
.LBB4_21:                               ;   Parent Loop BB4_19 Depth=1
                                        ; =>  This Inner Loop Header: Depth=2
	ds_load_b64 v[8:9], v6
	v_add_nc_u32_e32 v6, 8, v6
	s_add_co_i32 s3, s3, -1
	s_delay_alu instid0(SALU_CYCLE_1)
	s_cmp_eq_u32 s3, 0
	s_wait_dscnt 0x0
	v_add_nc_u64_e32 v[0:1], v[8:9], v[0:1]
	s_cbranch_scc0 .LBB4_21
.LBB4_22:                               ;   in Loop: Header=BB4_19 Depth=1
	s_mov_b32 s3, exec_lo
	s_delay_alu instid0(VALU_DEP_1)
	v_cmpx_ne_u64_e64 s[6:7], v[0:1]
	s_cbranch_execz .LBB4_18
; %bb.23:                               ;   in Loop: Header=BB4_19 Depth=1
	v_add_nc_u32_e32 v6, s2, v2
	global_atomic_add_u64 v6, v[0:1], s[4:5] scale_offset scope:SCOPE_DEV
	s_branch .LBB4_18
.LBB4_24:
	s_endpgm
	.section	.rodata,"a",@progbits
	.p2align	6, 0x0
	.amdhsa_kernel _ZN4RAJA6policy3hip4impl18forallp_hip_kernelINS1_8hip_execINS_17iteration_mapping6DirectENS_3hip11IndexGlobalILNS_9named_dimE0ELi256ELi0EEENS7_40AvoidDeviceMaxThreadOccupancyConcretizerINS7_34FractionOffsetOccupancyConcretizerINS_8FractionImLm1ELm1EEELln1EEEEELb1EEENS_9Iterators16numeric_iteratorIllPlEEZN8rajaperf9algorithm9HISTOGRAM26runHipVariantAtomicRuntimeILl256ELl32ELl4ENSM_11gpu_mapping20global_direct_helperEEEvNSM_9VariantIDEEUllE_lNS_4expt15ForallParamPackIJEEES6_SA_TnNSt9enable_ifIXaasr3std10is_base_ofINS5_10DirectBaseET4_EE5valuegtsrT5_10block_sizeLi0EEmE4typeELm256EEEvT1_T0_T2_T3_
		.amdhsa_group_segment_fixed_size 0
		.amdhsa_private_segment_fixed_size 0
		.amdhsa_kernarg_size 352
		.amdhsa_user_sgpr_count 2
		.amdhsa_user_sgpr_dispatch_ptr 0
		.amdhsa_user_sgpr_queue_ptr 0
		.amdhsa_user_sgpr_kernarg_segment_ptr 1
		.amdhsa_user_sgpr_dispatch_id 0
		.amdhsa_user_sgpr_kernarg_preload_length 0
		.amdhsa_user_sgpr_kernarg_preload_offset 0
		.amdhsa_user_sgpr_private_segment_size 0
		.amdhsa_wavefront_size32 1
		.amdhsa_uses_dynamic_stack 0
		.amdhsa_enable_private_segment 0
		.amdhsa_system_sgpr_workgroup_id_x 1
		.amdhsa_system_sgpr_workgroup_id_y 1
		.amdhsa_system_sgpr_workgroup_id_z 1
		.amdhsa_system_sgpr_workgroup_info 0
		.amdhsa_system_vgpr_workitem_id 2
		.amdhsa_next_free_vgpr 10
		.amdhsa_next_free_sgpr 24
		.amdhsa_named_barrier_count 0
		.amdhsa_reserve_vcc 1
		.amdhsa_float_round_mode_32 0
		.amdhsa_float_round_mode_16_64 0
		.amdhsa_float_denorm_mode_32 3
		.amdhsa_float_denorm_mode_16_64 3
		.amdhsa_fp16_overflow 0
		.amdhsa_memory_ordered 1
		.amdhsa_forward_progress 1
		.amdhsa_inst_pref_size 12
		.amdhsa_round_robin_scheduling 0
		.amdhsa_exception_fp_ieee_invalid_op 0
		.amdhsa_exception_fp_denorm_src 0
		.amdhsa_exception_fp_ieee_div_zero 0
		.amdhsa_exception_fp_ieee_overflow 0
		.amdhsa_exception_fp_ieee_underflow 0
		.amdhsa_exception_fp_ieee_inexact 0
		.amdhsa_exception_int_div_zero 0
	.end_amdhsa_kernel
	.section	.text._ZN4RAJA6policy3hip4impl18forallp_hip_kernelINS1_8hip_execINS_17iteration_mapping6DirectENS_3hip11IndexGlobalILNS_9named_dimE0ELi256ELi0EEENS7_40AvoidDeviceMaxThreadOccupancyConcretizerINS7_34FractionOffsetOccupancyConcretizerINS_8FractionImLm1ELm1EEELln1EEEEELb1EEENS_9Iterators16numeric_iteratorIllPlEEZN8rajaperf9algorithm9HISTOGRAM26runHipVariantAtomicRuntimeILl256ELl32ELl4ENSM_11gpu_mapping20global_direct_helperEEEvNSM_9VariantIDEEUllE_lNS_4expt15ForallParamPackIJEEES6_SA_TnNSt9enable_ifIXaasr3std10is_base_ofINS5_10DirectBaseET4_EE5valuegtsrT5_10block_sizeLi0EEmE4typeELm256EEEvT1_T0_T2_T3_,"axG",@progbits,_ZN4RAJA6policy3hip4impl18forallp_hip_kernelINS1_8hip_execINS_17iteration_mapping6DirectENS_3hip11IndexGlobalILNS_9named_dimE0ELi256ELi0EEENS7_40AvoidDeviceMaxThreadOccupancyConcretizerINS7_34FractionOffsetOccupancyConcretizerINS_8FractionImLm1ELm1EEELln1EEEEELb1EEENS_9Iterators16numeric_iteratorIllPlEEZN8rajaperf9algorithm9HISTOGRAM26runHipVariantAtomicRuntimeILl256ELl32ELl4ENSM_11gpu_mapping20global_direct_helperEEEvNSM_9VariantIDEEUllE_lNS_4expt15ForallParamPackIJEEES6_SA_TnNSt9enable_ifIXaasr3std10is_base_ofINS5_10DirectBaseET4_EE5valuegtsrT5_10block_sizeLi0EEmE4typeELm256EEEvT1_T0_T2_T3_,comdat
.Lfunc_end4:
	.size	_ZN4RAJA6policy3hip4impl18forallp_hip_kernelINS1_8hip_execINS_17iteration_mapping6DirectENS_3hip11IndexGlobalILNS_9named_dimE0ELi256ELi0EEENS7_40AvoidDeviceMaxThreadOccupancyConcretizerINS7_34FractionOffsetOccupancyConcretizerINS_8FractionImLm1ELm1EEELln1EEEEELb1EEENS_9Iterators16numeric_iteratorIllPlEEZN8rajaperf9algorithm9HISTOGRAM26runHipVariantAtomicRuntimeILl256ELl32ELl4ENSM_11gpu_mapping20global_direct_helperEEEvNSM_9VariantIDEEUllE_lNS_4expt15ForallParamPackIJEEES6_SA_TnNSt9enable_ifIXaasr3std10is_base_ofINS5_10DirectBaseET4_EE5valuegtsrT5_10block_sizeLi0EEmE4typeELm256EEEvT1_T0_T2_T3_, .Lfunc_end4-_ZN4RAJA6policy3hip4impl18forallp_hip_kernelINS1_8hip_execINS_17iteration_mapping6DirectENS_3hip11IndexGlobalILNS_9named_dimE0ELi256ELi0EEENS7_40AvoidDeviceMaxThreadOccupancyConcretizerINS7_34FractionOffsetOccupancyConcretizerINS_8FractionImLm1ELm1EEELln1EEEEELb1EEENS_9Iterators16numeric_iteratorIllPlEEZN8rajaperf9algorithm9HISTOGRAM26runHipVariantAtomicRuntimeILl256ELl32ELl4ENSM_11gpu_mapping20global_direct_helperEEEvNSM_9VariantIDEEUllE_lNS_4expt15ForallParamPackIJEEES6_SA_TnNSt9enable_ifIXaasr3std10is_base_ofINS5_10DirectBaseET4_EE5valuegtsrT5_10block_sizeLi0EEmE4typeELm256EEEvT1_T0_T2_T3_
                                        ; -- End function
	.set _ZN4RAJA6policy3hip4impl18forallp_hip_kernelINS1_8hip_execINS_17iteration_mapping6DirectENS_3hip11IndexGlobalILNS_9named_dimE0ELi256ELi0EEENS7_40AvoidDeviceMaxThreadOccupancyConcretizerINS7_34FractionOffsetOccupancyConcretizerINS_8FractionImLm1ELm1EEELln1EEEEELb1EEENS_9Iterators16numeric_iteratorIllPlEEZN8rajaperf9algorithm9HISTOGRAM26runHipVariantAtomicRuntimeILl256ELl32ELl4ENSM_11gpu_mapping20global_direct_helperEEEvNSM_9VariantIDEEUllE_lNS_4expt15ForallParamPackIJEEES6_SA_TnNSt9enable_ifIXaasr3std10is_base_ofINS5_10DirectBaseET4_EE5valuegtsrT5_10block_sizeLi0EEmE4typeELm256EEEvT1_T0_T2_T3_.num_vgpr, 10
	.set _ZN4RAJA6policy3hip4impl18forallp_hip_kernelINS1_8hip_execINS_17iteration_mapping6DirectENS_3hip11IndexGlobalILNS_9named_dimE0ELi256ELi0EEENS7_40AvoidDeviceMaxThreadOccupancyConcretizerINS7_34FractionOffsetOccupancyConcretizerINS_8FractionImLm1ELm1EEELln1EEEEELb1EEENS_9Iterators16numeric_iteratorIllPlEEZN8rajaperf9algorithm9HISTOGRAM26runHipVariantAtomicRuntimeILl256ELl32ELl4ENSM_11gpu_mapping20global_direct_helperEEEvNSM_9VariantIDEEUllE_lNS_4expt15ForallParamPackIJEEES6_SA_TnNSt9enable_ifIXaasr3std10is_base_ofINS5_10DirectBaseET4_EE5valuegtsrT5_10block_sizeLi0EEmE4typeELm256EEEvT1_T0_T2_T3_.num_agpr, 0
	.set _ZN4RAJA6policy3hip4impl18forallp_hip_kernelINS1_8hip_execINS_17iteration_mapping6DirectENS_3hip11IndexGlobalILNS_9named_dimE0ELi256ELi0EEENS7_40AvoidDeviceMaxThreadOccupancyConcretizerINS7_34FractionOffsetOccupancyConcretizerINS_8FractionImLm1ELm1EEELln1EEEEELb1EEENS_9Iterators16numeric_iteratorIllPlEEZN8rajaperf9algorithm9HISTOGRAM26runHipVariantAtomicRuntimeILl256ELl32ELl4ENSM_11gpu_mapping20global_direct_helperEEEvNSM_9VariantIDEEUllE_lNS_4expt15ForallParamPackIJEEES6_SA_TnNSt9enable_ifIXaasr3std10is_base_ofINS5_10DirectBaseET4_EE5valuegtsrT5_10block_sizeLi0EEmE4typeELm256EEEvT1_T0_T2_T3_.numbered_sgpr, 24
	.set _ZN4RAJA6policy3hip4impl18forallp_hip_kernelINS1_8hip_execINS_17iteration_mapping6DirectENS_3hip11IndexGlobalILNS_9named_dimE0ELi256ELi0EEENS7_40AvoidDeviceMaxThreadOccupancyConcretizerINS7_34FractionOffsetOccupancyConcretizerINS_8FractionImLm1ELm1EEELln1EEEEELb1EEENS_9Iterators16numeric_iteratorIllPlEEZN8rajaperf9algorithm9HISTOGRAM26runHipVariantAtomicRuntimeILl256ELl32ELl4ENSM_11gpu_mapping20global_direct_helperEEEvNSM_9VariantIDEEUllE_lNS_4expt15ForallParamPackIJEEES6_SA_TnNSt9enable_ifIXaasr3std10is_base_ofINS5_10DirectBaseET4_EE5valuegtsrT5_10block_sizeLi0EEmE4typeELm256EEEvT1_T0_T2_T3_.num_named_barrier, 0
	.set _ZN4RAJA6policy3hip4impl18forallp_hip_kernelINS1_8hip_execINS_17iteration_mapping6DirectENS_3hip11IndexGlobalILNS_9named_dimE0ELi256ELi0EEENS7_40AvoidDeviceMaxThreadOccupancyConcretizerINS7_34FractionOffsetOccupancyConcretizerINS_8FractionImLm1ELm1EEELln1EEEEELb1EEENS_9Iterators16numeric_iteratorIllPlEEZN8rajaperf9algorithm9HISTOGRAM26runHipVariantAtomicRuntimeILl256ELl32ELl4ENSM_11gpu_mapping20global_direct_helperEEEvNSM_9VariantIDEEUllE_lNS_4expt15ForallParamPackIJEEES6_SA_TnNSt9enable_ifIXaasr3std10is_base_ofINS5_10DirectBaseET4_EE5valuegtsrT5_10block_sizeLi0EEmE4typeELm256EEEvT1_T0_T2_T3_.private_seg_size, 0
	.set _ZN4RAJA6policy3hip4impl18forallp_hip_kernelINS1_8hip_execINS_17iteration_mapping6DirectENS_3hip11IndexGlobalILNS_9named_dimE0ELi256ELi0EEENS7_40AvoidDeviceMaxThreadOccupancyConcretizerINS7_34FractionOffsetOccupancyConcretizerINS_8FractionImLm1ELm1EEELln1EEEEELb1EEENS_9Iterators16numeric_iteratorIllPlEEZN8rajaperf9algorithm9HISTOGRAM26runHipVariantAtomicRuntimeILl256ELl32ELl4ENSM_11gpu_mapping20global_direct_helperEEEvNSM_9VariantIDEEUllE_lNS_4expt15ForallParamPackIJEEES6_SA_TnNSt9enable_ifIXaasr3std10is_base_ofINS5_10DirectBaseET4_EE5valuegtsrT5_10block_sizeLi0EEmE4typeELm256EEEvT1_T0_T2_T3_.uses_vcc, 1
	.set _ZN4RAJA6policy3hip4impl18forallp_hip_kernelINS1_8hip_execINS_17iteration_mapping6DirectENS_3hip11IndexGlobalILNS_9named_dimE0ELi256ELi0EEENS7_40AvoidDeviceMaxThreadOccupancyConcretizerINS7_34FractionOffsetOccupancyConcretizerINS_8FractionImLm1ELm1EEELln1EEEEELb1EEENS_9Iterators16numeric_iteratorIllPlEEZN8rajaperf9algorithm9HISTOGRAM26runHipVariantAtomicRuntimeILl256ELl32ELl4ENSM_11gpu_mapping20global_direct_helperEEEvNSM_9VariantIDEEUllE_lNS_4expt15ForallParamPackIJEEES6_SA_TnNSt9enable_ifIXaasr3std10is_base_ofINS5_10DirectBaseET4_EE5valuegtsrT5_10block_sizeLi0EEmE4typeELm256EEEvT1_T0_T2_T3_.uses_flat_scratch, 0
	.set _ZN4RAJA6policy3hip4impl18forallp_hip_kernelINS1_8hip_execINS_17iteration_mapping6DirectENS_3hip11IndexGlobalILNS_9named_dimE0ELi256ELi0EEENS7_40AvoidDeviceMaxThreadOccupancyConcretizerINS7_34FractionOffsetOccupancyConcretizerINS_8FractionImLm1ELm1EEELln1EEEEELb1EEENS_9Iterators16numeric_iteratorIllPlEEZN8rajaperf9algorithm9HISTOGRAM26runHipVariantAtomicRuntimeILl256ELl32ELl4ENSM_11gpu_mapping20global_direct_helperEEEvNSM_9VariantIDEEUllE_lNS_4expt15ForallParamPackIJEEES6_SA_TnNSt9enable_ifIXaasr3std10is_base_ofINS5_10DirectBaseET4_EE5valuegtsrT5_10block_sizeLi0EEmE4typeELm256EEEvT1_T0_T2_T3_.has_dyn_sized_stack, 0
	.set _ZN4RAJA6policy3hip4impl18forallp_hip_kernelINS1_8hip_execINS_17iteration_mapping6DirectENS_3hip11IndexGlobalILNS_9named_dimE0ELi256ELi0EEENS7_40AvoidDeviceMaxThreadOccupancyConcretizerINS7_34FractionOffsetOccupancyConcretizerINS_8FractionImLm1ELm1EEELln1EEEEELb1EEENS_9Iterators16numeric_iteratorIllPlEEZN8rajaperf9algorithm9HISTOGRAM26runHipVariantAtomicRuntimeILl256ELl32ELl4ENSM_11gpu_mapping20global_direct_helperEEEvNSM_9VariantIDEEUllE_lNS_4expt15ForallParamPackIJEEES6_SA_TnNSt9enable_ifIXaasr3std10is_base_ofINS5_10DirectBaseET4_EE5valuegtsrT5_10block_sizeLi0EEmE4typeELm256EEEvT1_T0_T2_T3_.has_recursion, 0
	.set _ZN4RAJA6policy3hip4impl18forallp_hip_kernelINS1_8hip_execINS_17iteration_mapping6DirectENS_3hip11IndexGlobalILNS_9named_dimE0ELi256ELi0EEENS7_40AvoidDeviceMaxThreadOccupancyConcretizerINS7_34FractionOffsetOccupancyConcretizerINS_8FractionImLm1ELm1EEELln1EEEEELb1EEENS_9Iterators16numeric_iteratorIllPlEEZN8rajaperf9algorithm9HISTOGRAM26runHipVariantAtomicRuntimeILl256ELl32ELl4ENSM_11gpu_mapping20global_direct_helperEEEvNSM_9VariantIDEEUllE_lNS_4expt15ForallParamPackIJEEES6_SA_TnNSt9enable_ifIXaasr3std10is_base_ofINS5_10DirectBaseET4_EE5valuegtsrT5_10block_sizeLi0EEmE4typeELm256EEEvT1_T0_T2_T3_.has_indirect_call, 0
	.section	.AMDGPU.csdata,"",@progbits
; Kernel info:
; codeLenInByte = 1520
; TotalNumSgprs: 26
; NumVgprs: 10
; ScratchSize: 0
; MemoryBound: 0
; FloatMode: 240
; IeeeMode: 1
; LDSByteSize: 0 bytes/workgroup (compile time only)
; SGPRBlocks: 0
; VGPRBlocks: 0
; NumSGPRsForWavesPerEU: 26
; NumVGPRsForWavesPerEU: 10
; NamedBarCnt: 0
; Occupancy: 16
; WaveLimiterHint : 1
; COMPUTE_PGM_RSRC2:SCRATCH_EN: 0
; COMPUTE_PGM_RSRC2:USER_SGPR: 2
; COMPUTE_PGM_RSRC2:TRAP_HANDLER: 0
; COMPUTE_PGM_RSRC2:TGID_X_EN: 1
; COMPUTE_PGM_RSRC2:TGID_Y_EN: 1
; COMPUTE_PGM_RSRC2:TGID_Z_EN: 1
; COMPUTE_PGM_RSRC2:TIDIG_COMP_CNT: 2
	.section	.text._ZN4RAJA6policy3hip4impl18forallp_hip_kernelINS1_8hip_execINS_17iteration_mapping11StridedLoopILm0EEENS_3hip11IndexGlobalILNS_9named_dimE0ELi256ELi0EEENS8_40AvoidDeviceMaxThreadOccupancyConcretizerINS8_34FractionOffsetOccupancyConcretizerINS_8FractionImLm1ELm1EEELln1EEEEELb1EEENS_9Iterators16numeric_iteratorIllPlEEZN8rajaperf9algorithm9HISTOGRAM26runHipVariantAtomicRuntimeILl256ELl32ELl4ENSN_11gpu_mapping40global_loop_occupancy_grid_stride_helperEEEvNSN_9VariantIDEEUllE_lNS_4expt15ForallParamPackIJEEES7_SB_TnNSt9enable_ifIXaaaasr3std10is_base_ofINS5_15StridedLoopBaseET4_EE5valuesr3std10is_base_ofINS5_15UnsizedLoopBaseES10_EE5valuegtsrT5_10block_sizeLi0EEmE4typeELm256EEEvT1_T0_T2_T3_,"axG",@progbits,_ZN4RAJA6policy3hip4impl18forallp_hip_kernelINS1_8hip_execINS_17iteration_mapping11StridedLoopILm0EEENS_3hip11IndexGlobalILNS_9named_dimE0ELi256ELi0EEENS8_40AvoidDeviceMaxThreadOccupancyConcretizerINS8_34FractionOffsetOccupancyConcretizerINS_8FractionImLm1ELm1EEELln1EEEEELb1EEENS_9Iterators16numeric_iteratorIllPlEEZN8rajaperf9algorithm9HISTOGRAM26runHipVariantAtomicRuntimeILl256ELl32ELl4ENSN_11gpu_mapping40global_loop_occupancy_grid_stride_helperEEEvNSN_9VariantIDEEUllE_lNS_4expt15ForallParamPackIJEEES7_SB_TnNSt9enable_ifIXaaaasr3std10is_base_ofINS5_15StridedLoopBaseET4_EE5valuesr3std10is_base_ofINS5_15UnsizedLoopBaseES10_EE5valuegtsrT5_10block_sizeLi0EEmE4typeELm256EEEvT1_T0_T2_T3_,comdat
	.protected	_ZN4RAJA6policy3hip4impl18forallp_hip_kernelINS1_8hip_execINS_17iteration_mapping11StridedLoopILm0EEENS_3hip11IndexGlobalILNS_9named_dimE0ELi256ELi0EEENS8_40AvoidDeviceMaxThreadOccupancyConcretizerINS8_34FractionOffsetOccupancyConcretizerINS_8FractionImLm1ELm1EEELln1EEEEELb1EEENS_9Iterators16numeric_iteratorIllPlEEZN8rajaperf9algorithm9HISTOGRAM26runHipVariantAtomicRuntimeILl256ELl32ELl4ENSN_11gpu_mapping40global_loop_occupancy_grid_stride_helperEEEvNSN_9VariantIDEEUllE_lNS_4expt15ForallParamPackIJEEES7_SB_TnNSt9enable_ifIXaaaasr3std10is_base_ofINS5_15StridedLoopBaseET4_EE5valuesr3std10is_base_ofINS5_15UnsizedLoopBaseES10_EE5valuegtsrT5_10block_sizeLi0EEmE4typeELm256EEEvT1_T0_T2_T3_ ; -- Begin function _ZN4RAJA6policy3hip4impl18forallp_hip_kernelINS1_8hip_execINS_17iteration_mapping11StridedLoopILm0EEENS_3hip11IndexGlobalILNS_9named_dimE0ELi256ELi0EEENS8_40AvoidDeviceMaxThreadOccupancyConcretizerINS8_34FractionOffsetOccupancyConcretizerINS_8FractionImLm1ELm1EEELln1EEEEELb1EEENS_9Iterators16numeric_iteratorIllPlEEZN8rajaperf9algorithm9HISTOGRAM26runHipVariantAtomicRuntimeILl256ELl32ELl4ENSN_11gpu_mapping40global_loop_occupancy_grid_stride_helperEEEvNSN_9VariantIDEEUllE_lNS_4expt15ForallParamPackIJEEES7_SB_TnNSt9enable_ifIXaaaasr3std10is_base_ofINS5_15StridedLoopBaseET4_EE5valuesr3std10is_base_ofINS5_15UnsizedLoopBaseES10_EE5valuegtsrT5_10block_sizeLi0EEmE4typeELm256EEEvT1_T0_T2_T3_
	.globl	_ZN4RAJA6policy3hip4impl18forallp_hip_kernelINS1_8hip_execINS_17iteration_mapping11StridedLoopILm0EEENS_3hip11IndexGlobalILNS_9named_dimE0ELi256ELi0EEENS8_40AvoidDeviceMaxThreadOccupancyConcretizerINS8_34FractionOffsetOccupancyConcretizerINS_8FractionImLm1ELm1EEELln1EEEEELb1EEENS_9Iterators16numeric_iteratorIllPlEEZN8rajaperf9algorithm9HISTOGRAM26runHipVariantAtomicRuntimeILl256ELl32ELl4ENSN_11gpu_mapping40global_loop_occupancy_grid_stride_helperEEEvNSN_9VariantIDEEUllE_lNS_4expt15ForallParamPackIJEEES7_SB_TnNSt9enable_ifIXaaaasr3std10is_base_ofINS5_15StridedLoopBaseET4_EE5valuesr3std10is_base_ofINS5_15UnsizedLoopBaseES10_EE5valuegtsrT5_10block_sizeLi0EEmE4typeELm256EEEvT1_T0_T2_T3_
	.p2align	8
	.type	_ZN4RAJA6policy3hip4impl18forallp_hip_kernelINS1_8hip_execINS_17iteration_mapping11StridedLoopILm0EEENS_3hip11IndexGlobalILNS_9named_dimE0ELi256ELi0EEENS8_40AvoidDeviceMaxThreadOccupancyConcretizerINS8_34FractionOffsetOccupancyConcretizerINS_8FractionImLm1ELm1EEELln1EEEEELb1EEENS_9Iterators16numeric_iteratorIllPlEEZN8rajaperf9algorithm9HISTOGRAM26runHipVariantAtomicRuntimeILl256ELl32ELl4ENSN_11gpu_mapping40global_loop_occupancy_grid_stride_helperEEEvNSN_9VariantIDEEUllE_lNS_4expt15ForallParamPackIJEEES7_SB_TnNSt9enable_ifIXaaaasr3std10is_base_ofINS5_15StridedLoopBaseET4_EE5valuesr3std10is_base_ofINS5_15UnsizedLoopBaseES10_EE5valuegtsrT5_10block_sizeLi0EEmE4typeELm256EEEvT1_T0_T2_T3_,@function
_ZN4RAJA6policy3hip4impl18forallp_hip_kernelINS1_8hip_execINS_17iteration_mapping11StridedLoopILm0EEENS_3hip11IndexGlobalILNS_9named_dimE0ELi256ELi0EEENS8_40AvoidDeviceMaxThreadOccupancyConcretizerINS8_34FractionOffsetOccupancyConcretizerINS_8FractionImLm1ELm1EEELln1EEEEELb1EEENS_9Iterators16numeric_iteratorIllPlEEZN8rajaperf9algorithm9HISTOGRAM26runHipVariantAtomicRuntimeILl256ELl32ELl4ENSN_11gpu_mapping40global_loop_occupancy_grid_stride_helperEEEvNSN_9VariantIDEEUllE_lNS_4expt15ForallParamPackIJEEES7_SB_TnNSt9enable_ifIXaaaasr3std10is_base_ofINS5_15StridedLoopBaseET4_EE5valuesr3std10is_base_ofINS5_15UnsizedLoopBaseES10_EE5valuegtsrT5_10block_sizeLi0EEmE4typeELm256EEEvT1_T0_T2_T3_: ; @_ZN4RAJA6policy3hip4impl18forallp_hip_kernelINS1_8hip_execINS_17iteration_mapping11StridedLoopILm0EEENS_3hip11IndexGlobalILNS_9named_dimE0ELi256ELi0EEENS8_40AvoidDeviceMaxThreadOccupancyConcretizerINS8_34FractionOffsetOccupancyConcretizerINS_8FractionImLm1ELm1EEELln1EEEEELb1EEENS_9Iterators16numeric_iteratorIllPlEEZN8rajaperf9algorithm9HISTOGRAM26runHipVariantAtomicRuntimeILl256ELl32ELl4ENSN_11gpu_mapping40global_loop_occupancy_grid_stride_helperEEEvNSN_9VariantIDEEUllE_lNS_4expt15ForallParamPackIJEEES7_SB_TnNSt9enable_ifIXaaaasr3std10is_base_ofINS5_15StridedLoopBaseET4_EE5valuesr3std10is_base_ofINS5_15UnsizedLoopBaseES10_EE5valuegtsrT5_10block_sizeLi0EEmE4typeELm256EEEvT1_T0_T2_T3_
; %bb.0:
	s_clause 0x4
	s_load_b64 s[2:3], s[0:1], 0x0
	s_load_b64 s[16:17], s[0:1], 0x50
	s_load_b256 s[4:11], s[0:1], 0x10
	s_load_b128 s[12:15], s[0:1], 0x40
	s_load_b32 s22, s[0:1], 0x30
	s_wait_kmcnt 0x0
	s_cmp_eq_u64 s[2:3], 0
	s_cselect_b32 s23, -1, 0
	s_cmp_lg_u64 s[2:3], 0
	s_cbranch_scc1 .LBB5_6
; %bb.1:
	s_cmp_eq_u32 s11, 0x7ffffffe
	s_cselect_b32 s2, -1, 0
	s_cmp_eq_u32 0, -1
	s_cselect_b32 s3, -1, 0
	s_delay_alu instid0(SALU_CYCLE_1) | instskip(NEXT) | instid1(SALU_CYCLE_1)
	s_or_b32 s2, s2, s3
	s_and_b32 vcc_lo, exec_lo, s2
	s_cbranch_vccnz .LBB5_6
; %bb.2:
	s_load_b32 s2, s[0:1], 0x6c
	v_and_b32_e32 v1, 0x3ff, v0
	v_bfe_u32 v2, v0, 10, 10
	s_wait_kmcnt 0x0
	s_and_b32 s3, s2, 0xffff
	s_lshr_b32 s18, s2, 16
	s_delay_alu instid0(VALU_DEP_1) | instskip(SKIP_4) | instid1(VALU_DEP_1)
	v_mad_u32_u24 v1, v2, s3, v1
	v_bfe_u32 v2, v0, 20, 10
	s_mul_i32 s18, s18, s3
	s_mul_i32 s2, s22, s8
	s_mov_b32 s3, exec_lo
	v_mad_u32 v1, s18, v2, v1
	s_delay_alu instid0(VALU_DEP_1)
	v_cmpx_gt_i32_e64 s2, v1
	s_cbranch_execz .LBB5_5
; %bb.3:
	s_load_b32 s19, s[0:1], 0x70
	v_lshlrev_b32_e32 v2, 3, v1
	s_delay_alu instid0(VALU_DEP_1) | instskip(SKIP_3) | instid1(SALU_CYCLE_1)
	v_add3_u32 v4, 0, s11, v2
	v_mov_b64_e32 v[2:3], s[6:7]
	s_wait_kmcnt 0x0
	s_and_b32 s19, s19, 0xffff
	s_and_b32 s19, s19, 0xffff
	s_delay_alu instid0(SALU_CYCLE_1)
	s_mul_i32 s18, s18, s19
	s_mov_b32 s19, 0
	s_lshl_b32 s20, s18, 3
.LBB5_4:                                ; =>This Inner Loop Header: Depth=1
	v_add_nc_u32_e32 v1, s18, v1
	ds_store_b64 v4, v[2:3]
	v_add_nc_u32_e32 v4, s20, v4
	v_cmp_le_i32_e32 vcc_lo, s2, v1
	s_or_b32 s19, vcc_lo, s19
	s_delay_alu instid0(SALU_CYCLE_1)
	s_and_not1_b32 exec_lo, exec_lo, s19
	s_cbranch_execnz .LBB5_4
.LBB5_5:
	s_or_b32 exec_lo, exec_lo, s3
	s_wait_dscnt 0x0
	s_barrier_signal -1
	s_barrier_wait -1
.LBB5_6:
	s_bfe_u32 s2, ttmp6, 0x4000c
	s_and_b32 s3, ttmp6, 15
	s_add_co_i32 s2, s2, 1
	s_getreg_b32 s24, hwreg(HW_REG_IB_STS2, 6, 4)
	s_mul_i32 s2, ttmp9, s2
	s_mov_b32 s19, 0
	s_add_co_i32 s2, s3, s2
	s_cmp_eq_u32 s24, 0
	v_and_b32_e32 v1, 0x3ff, v0
	s_mov_b32 s3, s19
	s_cselect_b32 s2, ttmp9, s2
	v_mov_b32_e32 v5, 0
	s_lshl_b64 s[20:21], s[2:3], 8
	s_mov_b32 s25, exec_lo
	v_dual_mov_b32 v3, s21 :: v_dual_bitop2_b32 v2, s20, v1 bitop3:0x54
	s_delay_alu instid0(VALU_DEP_1)
	v_cmpx_gt_i64_e64 s[16:17], v[2:3]
	s_cbranch_execz .LBB5_16
; %bb.7:
	s_cmp_lg_u32 s11, 0x7ffffffe
	v_lshlrev_b32_e32 v4, 3, v1
	s_cselect_b32 s18, -1, 0
	s_add_co_i32 s26, s11, 0
	s_cmp_lg_u32 0, -1
	v_mov_b64_e32 v[8:9], 1
	s_cselect_b32 s20, -1, 0
	v_bfe_u32 v10, v0, 10, 10
	s_and_b32 s27, s18, s20
	s_cmp_lg_u64 s[6:7], 1
	v_bfe_u32 v11, v0, 20, 10
	s_cselect_b32 s28, -1, 0
	s_bfe_u32 s18, ttmp6, 0x40014
	s_lshr_b32 s31, ttmp7, 16
	s_add_co_i32 s18, s18, 1
	s_and_b32 s34, ttmp7, 0xffff
	s_mul_i32 s33, s31, s18
	s_bfe_u32 s18, ttmp6, 0x40010
	s_bfe_u32 s30, ttmp6, 0x40008
	s_add_co_i32 s35, s18, 1
	s_load_b32 s18, s[0:1], 0x60
	s_mul_i32 s35, s34, s35
	s_bfe_u32 s36, ttmp6, 0x40004
	s_add_co_i32 s29, s22, 0x7fffffff
	s_add_co_i32 s33, s30, s33
	;; [unrolled: 1-line block ×3, first 2 shown]
	s_cmp_eq_u32 s24, 0
	s_add_nc_u64 s[20:21], s[0:1], 0x60
	s_cselect_b32 s30, s34, s36
	s_cselect_b32 s31, s31, s33
	s_lshl_b64 s[34:35], s[2:3], 11
	s_lshl_b64 s[14:15], s[14:15], 3
	s_add_co_i32 s3, s10, -1
	s_add_nc_u64 s[14:15], s[34:35], s[14:15]
	s_mov_b32 s33, 0
	s_add_nc_u64 s[12:13], s[12:13], s[14:15]
	s_delay_alu instid0(SALU_CYCLE_1)
	v_add_nc_u64_e32 v[6:7], s[12:13], v[4:5]
	s_wait_kmcnt 0x0
	s_lshl_b64 s[12:13], s[18:19], 8
	s_lshl_b64 s[14:15], s[18:19], 11
	s_branch .LBB5_9
.LBB5_8:                                ;   in Loop: Header=BB5_9 Depth=1
	v_add_nc_u64_e32 v[2:3], s[12:13], v[2:3]
	s_wait_xcnt 0x0
	v_add_nc_u64_e32 v[6:7], s[14:15], v[6:7]
	s_delay_alu instid0(VALU_DEP_2) | instskip(SKIP_1) | instid1(SALU_CYCLE_1)
	v_cmp_le_i64_e32 vcc_lo, s[16:17], v[2:3]
	s_or_b32 s33, vcc_lo, s33
	s_and_not1_b32 exec_lo, exec_lo, s33
	s_cbranch_execz .LBB5_16
.LBB5_9:                                ; =>This Inner Loop Header: Depth=1
	s_wait_loadcnt 0x0
	global_load_b32 v4, v[6:7], off
	s_and_not1_b32 vcc_lo, exec_lo, s27
	s_mov_b32 s18, -1
	s_cbranch_vccnz .LBB5_13
; %bb.10:                               ;   in Loop: Header=BB5_9 Depth=1
	s_and_not1_b32 vcc_lo, exec_lo, s28
	s_cbranch_vccnz .LBB5_12
; %bb.11:                               ;   in Loop: Header=BB5_9 Depth=1
	s_load_b32 s18, s[20:21], 0xc
	s_wait_loadcnt 0x0
	v_mul_lo_u32 v13, s22, v4
	s_delay_alu instid0(VALU_DEP_1) | instskip(SKIP_4) | instid1(VALU_DEP_1)
	v_lshlrev_b32_e32 v13, 3, v13
	s_wait_kmcnt 0x0
	s_lshr_b32 s34, s18, 16
	s_and_b32 s18, s18, 0xffff
	v_mad_u32_u24 v12, v11, s34, v10
	v_mad_u32 v12, v12, s18, v1
	s_delay_alu instid0(VALU_DEP_1) | instskip(NEXT) | instid1(VALU_DEP_1)
	v_and_b32_e32 v12, s29, v12
	v_lshlrev_b32_e32 v12, 3, v12
	s_delay_alu instid0(VALU_DEP_1)
	v_add3_u32 v12, s26, v12, v13
	ds_add_u64 v12, v[8:9]
.LBB5_12:                               ;   in Loop: Header=BB5_9 Depth=1
	s_mov_b32 s18, 0
.LBB5_13:                               ;   in Loop: Header=BB5_9 Depth=1
	s_delay_alu instid0(SALU_CYCLE_1)
	s_and_not1_b32 vcc_lo, exec_lo, s18
	s_cbranch_vccnz .LBB5_8
; %bb.14:                               ;   in Loop: Header=BB5_9 Depth=1
	s_and_not1_b32 vcc_lo, exec_lo, s28
	s_cbranch_vccnz .LBB5_8
; %bb.15:                               ;   in Loop: Header=BB5_9 Depth=1
	global_load_b32 v12, v5, s[20:21] offset:14
	s_load_b64 s[34:35], s[20:21], 0x0
	s_wait_kmcnt 0x0
	s_cmp_lt_u32 s2, s34
	s_cselect_b32 s18, 12, 18
	s_delay_alu instid0(SALU_CYCLE_1) | instskip(SKIP_4) | instid1(VALU_DEP_1)
	s_add_nc_u64 s[36:37], s[20:21], s[18:19]
	s_load_u16 s18, s[36:37], 0x0
	s_wait_loadcnt 0x0
	v_and_b32_e32 v13, 0xffff, v12
	s_wait_kmcnt 0x0
	v_mul_lo_u32 v14, v13, s18
	v_mad_u32_u24 v13, v11, v13, v10
	s_delay_alu instid0(VALU_DEP_1) | instskip(SKIP_2) | instid1(SALU_CYCLE_1)
	v_mad_u32 v13, v13, s18, v1
	v_lshrrev_b32_e32 v12, 16, v12
	s_mul_i32 s18, s35, s31
	s_add_co_i32 s18, s18, s30
	s_delay_alu instid0(SALU_CYCLE_1) | instskip(NEXT) | instid1(SALU_CYCLE_1)
	s_mul_i32 s18, s18, s34
	s_add_co_i32 s18, s18, s2
	s_delay_alu instid0(VALU_DEP_2) | instskip(SKIP_1) | instid1(VALU_DEP_1)
	v_lshrrev_b32_e32 v13, 6, v13
	v_mul_lo_u32 v12, v14, v12
	v_add_nc_u32_e32 v12, 63, v12
	s_delay_alu instid0(VALU_DEP_1) | instskip(NEXT) | instid1(VALU_DEP_1)
	v_lshrrev_b32_e32 v12, 6, v12
	v_mad_u32 v12, v12, s18, v13
	s_delay_alu instid0(VALU_DEP_1) | instskip(NEXT) | instid1(VALU_DEP_1)
	v_and_b32_e32 v12, s3, v12
	v_mad_u32 v4, v12, s9, v4
	global_atomic_add_u64 v4, v[8:9], s[4:5] scale_offset scope:SCOPE_DEV
	s_branch .LBB5_8
.LBB5_16:
	s_or_b32 exec_lo, exec_lo, s25
	s_delay_alu instid0(SALU_CYCLE_1)
	s_and_not1_b32 vcc_lo, exec_lo, s23
	s_cbranch_vccnz .LBB5_26
; %bb.17:
	s_cmp_eq_u32 s11, 0x7ffffffe
	s_mov_b32 s15, 0
	s_cselect_b32 s3, -1, 0
	s_cmp_eq_u32 0, -1
	s_cselect_b32 s12, -1, 0
	s_delay_alu instid0(SALU_CYCLE_1) | instskip(NEXT) | instid1(SALU_CYCLE_1)
	s_or_b32 s3, s3, s12
	s_and_b32 vcc_lo, exec_lo, s3
	s_cbranch_vccnz .LBB5_26
; %bb.18:
	v_mov_b32_e32 v2, 0
	s_load_b64 s[12:13], s[0:1], 0x60
	global_load_b32 v3, v2, s[0:1] offset:110
	s_wait_xcnt 0x0
	s_add_nc_u64 s[0:1], s[0:1], 0x60
	v_bfe_u32 v2, v0, 10, 10
	v_bfe_u32 v0, v0, 20, 10
	s_wait_kmcnt 0x0
	s_cmp_lt_u32 s2, s12
	s_cselect_b32 s14, 12, 18
	s_delay_alu instid0(SALU_CYCLE_1)
	s_add_nc_u64 s[0:1], s[0:1], s[14:15]
	s_load_u16 s0, s[0:1], 0x0
	s_wait_storecnt 0x0
	s_wait_loadcnt_dscnt 0x0
	s_barrier_signal -1
	s_barrier_wait -1
	s_wait_xcnt 0x0
	s_mov_b32 s1, exec_lo
	s_wait_kmcnt 0x0
	v_mad_u32_u24 v1, v2, s0, v1
	v_and_b32_e32 v5, 0xffff, v3
	s_delay_alu instid0(VALU_DEP_1) | instskip(NEXT) | instid1(VALU_DEP_1)
	v_mul_lo_u32 v4, v5, s0
	v_mad_u32 v2, v4, v0, v1
	s_delay_alu instid0(VALU_DEP_1)
	v_cmpx_gt_i32_e64 s8, v2
	s_cbranch_execz .LBB5_26
; %bb.19:
	s_mul_i32 s0, s22, s0
	s_bfe_u32 s1, ttmp6, 0x40010
	v_mul_lo_u32 v0, s0, v5
	v_mul_lo_u32 v1, s22, v2
	s_and_b32 s3, ttmp7, 0xffff
	s_add_co_i32 s1, s1, 1
	s_bfe_u32 s15, ttmp6, 0x40014
	s_bfe_u32 s14, ttmp6, 0x40004
	s_mul_i32 s1, s3, s1
	s_lshr_b32 s16, ttmp7, 16
	s_add_co_i32 s15, s15, 1
	s_add_co_i32 s14, s14, s1
	s_mul_i32 s1, s16, s15
	s_bfe_u32 s15, ttmp6, 0x40008
	v_dual_lshrrev_b32 v3, 16, v3 :: v_dual_lshlrev_b32 v1, 3, v1
	s_add_co_i32 s15, s15, s1
	s_cmp_eq_u32 s24, 0
	s_cselect_b32 s0, s16, s15
	s_delay_alu instid0(VALU_DEP_1)
	v_mul_lo_u32 v0, v0, v3
	s_mul_i32 s0, s13, s0
	s_cselect_b32 s1, s3, s14
	v_mul_lo_u32 v3, v4, v3
	s_add_co_i32 s0, s0, s1
	v_add3_u32 v4, 0, s11, v1
	s_mul_i32 s0, s0, s12
	s_delay_alu instid0(SALU_CYCLE_1)
	s_add_co_i32 s1, s0, s2
	s_cmp_gt_i32 s22, 0
	s_cselect_b32 s0, -1, 0
	s_add_co_i32 s2, s10, -1
	v_lshlrev_b32_e32 v5, 3, v0
	s_and_b32 s2, s1, s2
	s_mov_b32 s1, 0
	s_mul_i32 s2, s2, s9
	s_branch .LBB5_21
.LBB5_20:                               ;   in Loop: Header=BB5_21 Depth=1
	s_wait_xcnt 0x0
	s_or_b32 exec_lo, exec_lo, s3
	v_dual_add_nc_u32 v2, v2, v3 :: v_dual_add_nc_u32 v4, v4, v5
	s_delay_alu instid0(VALU_DEP_1) | instskip(SKIP_1) | instid1(SALU_CYCLE_1)
	v_cmp_le_i32_e32 vcc_lo, s8, v2
	s_or_b32 s1, vcc_lo, s1
	s_and_not1_b32 exec_lo, exec_lo, s1
	s_cbranch_execz .LBB5_26
.LBB5_21:                               ; =>This Loop Header: Depth=1
                                        ;     Child Loop BB5_23 Depth 2
	v_mov_b64_e32 v[0:1], s[6:7]
	s_and_not1_b32 vcc_lo, exec_lo, s0
	s_cbranch_vccnz .LBB5_24
; %bb.22:                               ;   in Loop: Header=BB5_21 Depth=1
	v_mov_b64_e32 v[0:1], s[6:7]
	v_mov_b32_e32 v6, v4
	s_mov_b32 s3, s22
.LBB5_23:                               ;   Parent Loop BB5_21 Depth=1
                                        ; =>  This Inner Loop Header: Depth=2
	ds_load_b64 v[8:9], v6
	v_add_nc_u32_e32 v6, 8, v6
	s_add_co_i32 s3, s3, -1
	s_delay_alu instid0(SALU_CYCLE_1)
	s_cmp_eq_u32 s3, 0
	s_wait_dscnt 0x0
	v_add_nc_u64_e32 v[0:1], v[8:9], v[0:1]
	s_cbranch_scc0 .LBB5_23
.LBB5_24:                               ;   in Loop: Header=BB5_21 Depth=1
	s_mov_b32 s3, exec_lo
	s_delay_alu instid0(VALU_DEP_1)
	v_cmpx_ne_u64_e64 s[6:7], v[0:1]
	s_cbranch_execz .LBB5_20
; %bb.25:                               ;   in Loop: Header=BB5_21 Depth=1
	v_add_nc_u32_e32 v6, s2, v2
	global_atomic_add_u64 v6, v[0:1], s[4:5] scale_offset scope:SCOPE_DEV
	s_branch .LBB5_20
.LBB5_26:
	s_endpgm
	.section	.rodata,"a",@progbits
	.p2align	6, 0x0
	.amdhsa_kernel _ZN4RAJA6policy3hip4impl18forallp_hip_kernelINS1_8hip_execINS_17iteration_mapping11StridedLoopILm0EEENS_3hip11IndexGlobalILNS_9named_dimE0ELi256ELi0EEENS8_40AvoidDeviceMaxThreadOccupancyConcretizerINS8_34FractionOffsetOccupancyConcretizerINS_8FractionImLm1ELm1EEELln1EEEEELb1EEENS_9Iterators16numeric_iteratorIllPlEEZN8rajaperf9algorithm9HISTOGRAM26runHipVariantAtomicRuntimeILl256ELl32ELl4ENSN_11gpu_mapping40global_loop_occupancy_grid_stride_helperEEEvNSN_9VariantIDEEUllE_lNS_4expt15ForallParamPackIJEEES7_SB_TnNSt9enable_ifIXaaaasr3std10is_base_ofINS5_15StridedLoopBaseET4_EE5valuesr3std10is_base_ofINS5_15UnsizedLoopBaseES10_EE5valuegtsrT5_10block_sizeLi0EEmE4typeELm256EEEvT1_T0_T2_T3_
		.amdhsa_group_segment_fixed_size 0
		.amdhsa_private_segment_fixed_size 0
		.amdhsa_kernarg_size 352
		.amdhsa_user_sgpr_count 2
		.amdhsa_user_sgpr_dispatch_ptr 0
		.amdhsa_user_sgpr_queue_ptr 0
		.amdhsa_user_sgpr_kernarg_segment_ptr 1
		.amdhsa_user_sgpr_dispatch_id 0
		.amdhsa_user_sgpr_kernarg_preload_length 0
		.amdhsa_user_sgpr_kernarg_preload_offset 0
		.amdhsa_user_sgpr_private_segment_size 0
		.amdhsa_wavefront_size32 1
		.amdhsa_uses_dynamic_stack 0
		.amdhsa_enable_private_segment 0
		.amdhsa_system_sgpr_workgroup_id_x 1
		.amdhsa_system_sgpr_workgroup_id_y 1
		.amdhsa_system_sgpr_workgroup_id_z 1
		.amdhsa_system_sgpr_workgroup_info 0
		.amdhsa_system_vgpr_workitem_id 2
		.amdhsa_next_free_vgpr 15
		.amdhsa_next_free_sgpr 38
		.amdhsa_named_barrier_count 0
		.amdhsa_reserve_vcc 1
		.amdhsa_float_round_mode_32 0
		.amdhsa_float_round_mode_16_64 0
		.amdhsa_float_denorm_mode_32 3
		.amdhsa_float_denorm_mode_16_64 3
		.amdhsa_fp16_overflow 0
		.amdhsa_memory_ordered 1
		.amdhsa_forward_progress 1
		.amdhsa_inst_pref_size 12
		.amdhsa_round_robin_scheduling 0
		.amdhsa_exception_fp_ieee_invalid_op 0
		.amdhsa_exception_fp_denorm_src 0
		.amdhsa_exception_fp_ieee_div_zero 0
		.amdhsa_exception_fp_ieee_overflow 0
		.amdhsa_exception_fp_ieee_underflow 0
		.amdhsa_exception_fp_ieee_inexact 0
		.amdhsa_exception_int_div_zero 0
	.end_amdhsa_kernel
	.section	.text._ZN4RAJA6policy3hip4impl18forallp_hip_kernelINS1_8hip_execINS_17iteration_mapping11StridedLoopILm0EEENS_3hip11IndexGlobalILNS_9named_dimE0ELi256ELi0EEENS8_40AvoidDeviceMaxThreadOccupancyConcretizerINS8_34FractionOffsetOccupancyConcretizerINS_8FractionImLm1ELm1EEELln1EEEEELb1EEENS_9Iterators16numeric_iteratorIllPlEEZN8rajaperf9algorithm9HISTOGRAM26runHipVariantAtomicRuntimeILl256ELl32ELl4ENSN_11gpu_mapping40global_loop_occupancy_grid_stride_helperEEEvNSN_9VariantIDEEUllE_lNS_4expt15ForallParamPackIJEEES7_SB_TnNSt9enable_ifIXaaaasr3std10is_base_ofINS5_15StridedLoopBaseET4_EE5valuesr3std10is_base_ofINS5_15UnsizedLoopBaseES10_EE5valuegtsrT5_10block_sizeLi0EEmE4typeELm256EEEvT1_T0_T2_T3_,"axG",@progbits,_ZN4RAJA6policy3hip4impl18forallp_hip_kernelINS1_8hip_execINS_17iteration_mapping11StridedLoopILm0EEENS_3hip11IndexGlobalILNS_9named_dimE0ELi256ELi0EEENS8_40AvoidDeviceMaxThreadOccupancyConcretizerINS8_34FractionOffsetOccupancyConcretizerINS_8FractionImLm1ELm1EEELln1EEEEELb1EEENS_9Iterators16numeric_iteratorIllPlEEZN8rajaperf9algorithm9HISTOGRAM26runHipVariantAtomicRuntimeILl256ELl32ELl4ENSN_11gpu_mapping40global_loop_occupancy_grid_stride_helperEEEvNSN_9VariantIDEEUllE_lNS_4expt15ForallParamPackIJEEES7_SB_TnNSt9enable_ifIXaaaasr3std10is_base_ofINS5_15StridedLoopBaseET4_EE5valuesr3std10is_base_ofINS5_15UnsizedLoopBaseES10_EE5valuegtsrT5_10block_sizeLi0EEmE4typeELm256EEEvT1_T0_T2_T3_,comdat
.Lfunc_end5:
	.size	_ZN4RAJA6policy3hip4impl18forallp_hip_kernelINS1_8hip_execINS_17iteration_mapping11StridedLoopILm0EEENS_3hip11IndexGlobalILNS_9named_dimE0ELi256ELi0EEENS8_40AvoidDeviceMaxThreadOccupancyConcretizerINS8_34FractionOffsetOccupancyConcretizerINS_8FractionImLm1ELm1EEELln1EEEEELb1EEENS_9Iterators16numeric_iteratorIllPlEEZN8rajaperf9algorithm9HISTOGRAM26runHipVariantAtomicRuntimeILl256ELl32ELl4ENSN_11gpu_mapping40global_loop_occupancy_grid_stride_helperEEEvNSN_9VariantIDEEUllE_lNS_4expt15ForallParamPackIJEEES7_SB_TnNSt9enable_ifIXaaaasr3std10is_base_ofINS5_15StridedLoopBaseET4_EE5valuesr3std10is_base_ofINS5_15UnsizedLoopBaseES10_EE5valuegtsrT5_10block_sizeLi0EEmE4typeELm256EEEvT1_T0_T2_T3_, .Lfunc_end5-_ZN4RAJA6policy3hip4impl18forallp_hip_kernelINS1_8hip_execINS_17iteration_mapping11StridedLoopILm0EEENS_3hip11IndexGlobalILNS_9named_dimE0ELi256ELi0EEENS8_40AvoidDeviceMaxThreadOccupancyConcretizerINS8_34FractionOffsetOccupancyConcretizerINS_8FractionImLm1ELm1EEELln1EEEEELb1EEENS_9Iterators16numeric_iteratorIllPlEEZN8rajaperf9algorithm9HISTOGRAM26runHipVariantAtomicRuntimeILl256ELl32ELl4ENSN_11gpu_mapping40global_loop_occupancy_grid_stride_helperEEEvNSN_9VariantIDEEUllE_lNS_4expt15ForallParamPackIJEEES7_SB_TnNSt9enable_ifIXaaaasr3std10is_base_ofINS5_15StridedLoopBaseET4_EE5valuesr3std10is_base_ofINS5_15UnsizedLoopBaseES10_EE5valuegtsrT5_10block_sizeLi0EEmE4typeELm256EEEvT1_T0_T2_T3_
                                        ; -- End function
	.set _ZN4RAJA6policy3hip4impl18forallp_hip_kernelINS1_8hip_execINS_17iteration_mapping11StridedLoopILm0EEENS_3hip11IndexGlobalILNS_9named_dimE0ELi256ELi0EEENS8_40AvoidDeviceMaxThreadOccupancyConcretizerINS8_34FractionOffsetOccupancyConcretizerINS_8FractionImLm1ELm1EEELln1EEEEELb1EEENS_9Iterators16numeric_iteratorIllPlEEZN8rajaperf9algorithm9HISTOGRAM26runHipVariantAtomicRuntimeILl256ELl32ELl4ENSN_11gpu_mapping40global_loop_occupancy_grid_stride_helperEEEvNSN_9VariantIDEEUllE_lNS_4expt15ForallParamPackIJEEES7_SB_TnNSt9enable_ifIXaaaasr3std10is_base_ofINS5_15StridedLoopBaseET4_EE5valuesr3std10is_base_ofINS5_15UnsizedLoopBaseES10_EE5valuegtsrT5_10block_sizeLi0EEmE4typeELm256EEEvT1_T0_T2_T3_.num_vgpr, 15
	.set _ZN4RAJA6policy3hip4impl18forallp_hip_kernelINS1_8hip_execINS_17iteration_mapping11StridedLoopILm0EEENS_3hip11IndexGlobalILNS_9named_dimE0ELi256ELi0EEENS8_40AvoidDeviceMaxThreadOccupancyConcretizerINS8_34FractionOffsetOccupancyConcretizerINS_8FractionImLm1ELm1EEELln1EEEEELb1EEENS_9Iterators16numeric_iteratorIllPlEEZN8rajaperf9algorithm9HISTOGRAM26runHipVariantAtomicRuntimeILl256ELl32ELl4ENSN_11gpu_mapping40global_loop_occupancy_grid_stride_helperEEEvNSN_9VariantIDEEUllE_lNS_4expt15ForallParamPackIJEEES7_SB_TnNSt9enable_ifIXaaaasr3std10is_base_ofINS5_15StridedLoopBaseET4_EE5valuesr3std10is_base_ofINS5_15UnsizedLoopBaseES10_EE5valuegtsrT5_10block_sizeLi0EEmE4typeELm256EEEvT1_T0_T2_T3_.num_agpr, 0
	.set _ZN4RAJA6policy3hip4impl18forallp_hip_kernelINS1_8hip_execINS_17iteration_mapping11StridedLoopILm0EEENS_3hip11IndexGlobalILNS_9named_dimE0ELi256ELi0EEENS8_40AvoidDeviceMaxThreadOccupancyConcretizerINS8_34FractionOffsetOccupancyConcretizerINS_8FractionImLm1ELm1EEELln1EEEEELb1EEENS_9Iterators16numeric_iteratorIllPlEEZN8rajaperf9algorithm9HISTOGRAM26runHipVariantAtomicRuntimeILl256ELl32ELl4ENSN_11gpu_mapping40global_loop_occupancy_grid_stride_helperEEEvNSN_9VariantIDEEUllE_lNS_4expt15ForallParamPackIJEEES7_SB_TnNSt9enable_ifIXaaaasr3std10is_base_ofINS5_15StridedLoopBaseET4_EE5valuesr3std10is_base_ofINS5_15UnsizedLoopBaseES10_EE5valuegtsrT5_10block_sizeLi0EEmE4typeELm256EEEvT1_T0_T2_T3_.numbered_sgpr, 38
	.set _ZN4RAJA6policy3hip4impl18forallp_hip_kernelINS1_8hip_execINS_17iteration_mapping11StridedLoopILm0EEENS_3hip11IndexGlobalILNS_9named_dimE0ELi256ELi0EEENS8_40AvoidDeviceMaxThreadOccupancyConcretizerINS8_34FractionOffsetOccupancyConcretizerINS_8FractionImLm1ELm1EEELln1EEEEELb1EEENS_9Iterators16numeric_iteratorIllPlEEZN8rajaperf9algorithm9HISTOGRAM26runHipVariantAtomicRuntimeILl256ELl32ELl4ENSN_11gpu_mapping40global_loop_occupancy_grid_stride_helperEEEvNSN_9VariantIDEEUllE_lNS_4expt15ForallParamPackIJEEES7_SB_TnNSt9enable_ifIXaaaasr3std10is_base_ofINS5_15StridedLoopBaseET4_EE5valuesr3std10is_base_ofINS5_15UnsizedLoopBaseES10_EE5valuegtsrT5_10block_sizeLi0EEmE4typeELm256EEEvT1_T0_T2_T3_.num_named_barrier, 0
	.set _ZN4RAJA6policy3hip4impl18forallp_hip_kernelINS1_8hip_execINS_17iteration_mapping11StridedLoopILm0EEENS_3hip11IndexGlobalILNS_9named_dimE0ELi256ELi0EEENS8_40AvoidDeviceMaxThreadOccupancyConcretizerINS8_34FractionOffsetOccupancyConcretizerINS_8FractionImLm1ELm1EEELln1EEEEELb1EEENS_9Iterators16numeric_iteratorIllPlEEZN8rajaperf9algorithm9HISTOGRAM26runHipVariantAtomicRuntimeILl256ELl32ELl4ENSN_11gpu_mapping40global_loop_occupancy_grid_stride_helperEEEvNSN_9VariantIDEEUllE_lNS_4expt15ForallParamPackIJEEES7_SB_TnNSt9enable_ifIXaaaasr3std10is_base_ofINS5_15StridedLoopBaseET4_EE5valuesr3std10is_base_ofINS5_15UnsizedLoopBaseES10_EE5valuegtsrT5_10block_sizeLi0EEmE4typeELm256EEEvT1_T0_T2_T3_.private_seg_size, 0
	.set _ZN4RAJA6policy3hip4impl18forallp_hip_kernelINS1_8hip_execINS_17iteration_mapping11StridedLoopILm0EEENS_3hip11IndexGlobalILNS_9named_dimE0ELi256ELi0EEENS8_40AvoidDeviceMaxThreadOccupancyConcretizerINS8_34FractionOffsetOccupancyConcretizerINS_8FractionImLm1ELm1EEELln1EEEEELb1EEENS_9Iterators16numeric_iteratorIllPlEEZN8rajaperf9algorithm9HISTOGRAM26runHipVariantAtomicRuntimeILl256ELl32ELl4ENSN_11gpu_mapping40global_loop_occupancy_grid_stride_helperEEEvNSN_9VariantIDEEUllE_lNS_4expt15ForallParamPackIJEEES7_SB_TnNSt9enable_ifIXaaaasr3std10is_base_ofINS5_15StridedLoopBaseET4_EE5valuesr3std10is_base_ofINS5_15UnsizedLoopBaseES10_EE5valuegtsrT5_10block_sizeLi0EEmE4typeELm256EEEvT1_T0_T2_T3_.uses_vcc, 1
	.set _ZN4RAJA6policy3hip4impl18forallp_hip_kernelINS1_8hip_execINS_17iteration_mapping11StridedLoopILm0EEENS_3hip11IndexGlobalILNS_9named_dimE0ELi256ELi0EEENS8_40AvoidDeviceMaxThreadOccupancyConcretizerINS8_34FractionOffsetOccupancyConcretizerINS_8FractionImLm1ELm1EEELln1EEEEELb1EEENS_9Iterators16numeric_iteratorIllPlEEZN8rajaperf9algorithm9HISTOGRAM26runHipVariantAtomicRuntimeILl256ELl32ELl4ENSN_11gpu_mapping40global_loop_occupancy_grid_stride_helperEEEvNSN_9VariantIDEEUllE_lNS_4expt15ForallParamPackIJEEES7_SB_TnNSt9enable_ifIXaaaasr3std10is_base_ofINS5_15StridedLoopBaseET4_EE5valuesr3std10is_base_ofINS5_15UnsizedLoopBaseES10_EE5valuegtsrT5_10block_sizeLi0EEmE4typeELm256EEEvT1_T0_T2_T3_.uses_flat_scratch, 0
	.set _ZN4RAJA6policy3hip4impl18forallp_hip_kernelINS1_8hip_execINS_17iteration_mapping11StridedLoopILm0EEENS_3hip11IndexGlobalILNS_9named_dimE0ELi256ELi0EEENS8_40AvoidDeviceMaxThreadOccupancyConcretizerINS8_34FractionOffsetOccupancyConcretizerINS_8FractionImLm1ELm1EEELln1EEEEELb1EEENS_9Iterators16numeric_iteratorIllPlEEZN8rajaperf9algorithm9HISTOGRAM26runHipVariantAtomicRuntimeILl256ELl32ELl4ENSN_11gpu_mapping40global_loop_occupancy_grid_stride_helperEEEvNSN_9VariantIDEEUllE_lNS_4expt15ForallParamPackIJEEES7_SB_TnNSt9enable_ifIXaaaasr3std10is_base_ofINS5_15StridedLoopBaseET4_EE5valuesr3std10is_base_ofINS5_15UnsizedLoopBaseES10_EE5valuegtsrT5_10block_sizeLi0EEmE4typeELm256EEEvT1_T0_T2_T3_.has_dyn_sized_stack, 0
	.set _ZN4RAJA6policy3hip4impl18forallp_hip_kernelINS1_8hip_execINS_17iteration_mapping11StridedLoopILm0EEENS_3hip11IndexGlobalILNS_9named_dimE0ELi256ELi0EEENS8_40AvoidDeviceMaxThreadOccupancyConcretizerINS8_34FractionOffsetOccupancyConcretizerINS_8FractionImLm1ELm1EEELln1EEEEELb1EEENS_9Iterators16numeric_iteratorIllPlEEZN8rajaperf9algorithm9HISTOGRAM26runHipVariantAtomicRuntimeILl256ELl32ELl4ENSN_11gpu_mapping40global_loop_occupancy_grid_stride_helperEEEvNSN_9VariantIDEEUllE_lNS_4expt15ForallParamPackIJEEES7_SB_TnNSt9enable_ifIXaaaasr3std10is_base_ofINS5_15StridedLoopBaseET4_EE5valuesr3std10is_base_ofINS5_15UnsizedLoopBaseES10_EE5valuegtsrT5_10block_sizeLi0EEmE4typeELm256EEEvT1_T0_T2_T3_.has_recursion, 0
	.set _ZN4RAJA6policy3hip4impl18forallp_hip_kernelINS1_8hip_execINS_17iteration_mapping11StridedLoopILm0EEENS_3hip11IndexGlobalILNS_9named_dimE0ELi256ELi0EEENS8_40AvoidDeviceMaxThreadOccupancyConcretizerINS8_34FractionOffsetOccupancyConcretizerINS_8FractionImLm1ELm1EEELln1EEEEELb1EEENS_9Iterators16numeric_iteratorIllPlEEZN8rajaperf9algorithm9HISTOGRAM26runHipVariantAtomicRuntimeILl256ELl32ELl4ENSN_11gpu_mapping40global_loop_occupancy_grid_stride_helperEEEvNSN_9VariantIDEEUllE_lNS_4expt15ForallParamPackIJEEES7_SB_TnNSt9enable_ifIXaaaasr3std10is_base_ofINS5_15StridedLoopBaseET4_EE5valuesr3std10is_base_ofINS5_15UnsizedLoopBaseES10_EE5valuegtsrT5_10block_sizeLi0EEmE4typeELm256EEEvT1_T0_T2_T3_.has_indirect_call, 0
	.section	.AMDGPU.csdata,"",@progbits
; Kernel info:
; codeLenInByte = 1536
; TotalNumSgprs: 40
; NumVgprs: 15
; ScratchSize: 0
; MemoryBound: 0
; FloatMode: 240
; IeeeMode: 1
; LDSByteSize: 0 bytes/workgroup (compile time only)
; SGPRBlocks: 0
; VGPRBlocks: 0
; NumSGPRsForWavesPerEU: 40
; NumVGPRsForWavesPerEU: 15
; NamedBarCnt: 0
; Occupancy: 16
; WaveLimiterHint : 1
; COMPUTE_PGM_RSRC2:SCRATCH_EN: 0
; COMPUTE_PGM_RSRC2:USER_SGPR: 2
; COMPUTE_PGM_RSRC2:TRAP_HANDLER: 0
; COMPUTE_PGM_RSRC2:TGID_X_EN: 1
; COMPUTE_PGM_RSRC2:TGID_Y_EN: 1
; COMPUTE_PGM_RSRC2:TGID_Z_EN: 1
; COMPUTE_PGM_RSRC2:TIDIG_COMP_CNT: 2
	.section	.AMDGPU.gpr_maximums,"",@progbits
	.set amdgpu.max_num_vgpr, 0
	.set amdgpu.max_num_agpr, 0
	.set amdgpu.max_num_sgpr, 0
	.section	.AMDGPU.csdata,"",@progbits
	.type	__hip_cuid_bc0ab1db0e0d696b,@object ; @__hip_cuid_bc0ab1db0e0d696b
	.section	.bss,"aw",@nobits
	.globl	__hip_cuid_bc0ab1db0e0d696b
__hip_cuid_bc0ab1db0e0d696b:
	.byte	0                               ; 0x0
	.size	__hip_cuid_bc0ab1db0e0d696b, 1

	.ident	"AMD clang version 22.0.0git (https://github.com/RadeonOpenCompute/llvm-project roc-7.2.4 26084 f58b06dce1f9c15707c5f808fd002e18c2accf7e)"
	.section	".note.GNU-stack","",@progbits
	.addrsig
	.addrsig_sym _ZN7rocprim6detail15block_histogramE
	.addrsig_sym _ZN8rajaperf9algorithm13shared_countsE
	.addrsig_sym _ZN4RAJA3hip10shared_memE
	.addrsig_sym __hip_cuid_bc0ab1db0e0d696b
	.amdgpu_metadata
---
amdhsa.kernels:
  - .args:
      - .address_space:  global
        .offset:         0
        .size:           8
        .value_kind:     global_buffer
      - .offset:         8
        .size:           4
        .value_kind:     by_value
    .group_segment_fixed_size: 0
    .kernarg_segment_align: 8
    .kernarg_segment_size: 12
    .language:       OpenCL C
    .language_version:
      - 2
      - 0
    .max_flat_workgroup_size: 256
    .name:           _ZN7rocprim6detail21init_histogram_kernelINS0_24wrapped_histogram_configINS_14default_configElLj1ELj1EEELj1EyEEvNS0_11fixed_arrayIPT1_XT0_EEENS5_IjXT0_EEE
    .private_segment_fixed_size: 0
    .sgpr_count:     8
    .sgpr_spill_count: 0
    .symbol:         _ZN7rocprim6detail21init_histogram_kernelINS0_24wrapped_histogram_configINS_14default_configElLj1ELj1EEELj1EyEEvNS0_11fixed_arrayIPT1_XT0_EEENS5_IjXT0_EEE.kd
    .uniform_work_group_size: 1
    .uses_dynamic_stack: false
    .vgpr_count:     4
    .vgpr_spill_count: 0
    .wavefront_size: 32
  - .args:
      - .address_space:  global
        .offset:         0
        .size:           8
        .value_kind:     global_buffer
      - .offset:         8
        .size:           4
        .value_kind:     by_value
      - .offset:         12
        .size:           4
        .value_kind:     by_value
      - .offset:         16
        .size:           4
        .value_kind:     by_value
      - .offset:         20
        .size:           4
        .value_kind:     by_value
      - .offset:         24
        .size:           4
        .value_kind:     by_value
      - .address_space:  global
        .offset:         32
        .size:           8
        .value_kind:     global_buffer
      - .offset:         40
        .size:           32
        .value_kind:     by_value
      - .offset:         72
        .size:           4
        .value_kind:     by_value
      - .offset:         80
        .size:           4
        .value_kind:     hidden_block_count_x
      - .offset:         84
        .size:           4
        .value_kind:     hidden_block_count_y
      - .offset:         88
        .size:           4
        .value_kind:     hidden_block_count_z
      - .offset:         92
        .size:           2
        .value_kind:     hidden_group_size_x
      - .offset:         94
        .size:           2
        .value_kind:     hidden_group_size_y
      - .offset:         96
        .size:           2
        .value_kind:     hidden_group_size_z
      - .offset:         98
        .size:           2
        .value_kind:     hidden_remainder_x
      - .offset:         100
        .size:           2
        .value_kind:     hidden_remainder_y
      - .offset:         102
        .size:           2
        .value_kind:     hidden_remainder_z
      - .offset:         120
        .size:           8
        .value_kind:     hidden_global_offset_x
      - .offset:         128
        .size:           8
        .value_kind:     hidden_global_offset_y
      - .offset:         136
        .size:           8
        .value_kind:     hidden_global_offset_z
      - .offset:         144
        .size:           2
        .value_kind:     hidden_grid_dims
      - .offset:         200
        .size:           4
        .value_kind:     hidden_dynamic_lds_size
    .group_segment_fixed_size: 0
    .kernarg_segment_align: 8
    .kernarg_segment_size: 336
    .language:       OpenCL C
    .language_version:
      - 2
      - 0
    .max_flat_workgroup_size: 256
    .name:           _ZN7rocprim6detail23histogram_shared_kernelINS0_24wrapped_histogram_configINS_14default_configElLj1ELj1EEELj1ELj1EPlyNS0_18sample_to_bin_evenIlvEEEEvT2_jjjjjNS0_11fixed_arrayIPT3_XT1_EEENS9_IT4_XT1_EEENS9_IjXT1_EEE
    .private_segment_fixed_size: 0
    .sgpr_count:     55
    .sgpr_spill_count: 0
    .symbol:         _ZN7rocprim6detail23histogram_shared_kernelINS0_24wrapped_histogram_configINS_14default_configElLj1ELj1EEELj1ELj1EPlyNS0_18sample_to_bin_evenIlvEEEEvT2_jjjjjNS0_11fixed_arrayIPT3_XT1_EEENS9_IT4_XT1_EEENS9_IjXT1_EEE.kd
    .uniform_work_group_size: 1
    .uses_dynamic_stack: false
    .vgpr_count:     42
    .vgpr_spill_count: 0
    .wavefront_size: 32
  - .args:
      - .address_space:  global
        .offset:         0
        .size:           8
        .value_kind:     global_buffer
      - .offset:         8
        .size:           4
        .value_kind:     by_value
      - .offset:         12
        .size:           4
        .value_kind:     by_value
      - .address_space:  global
        .offset:         16
        .size:           8
        .value_kind:     global_buffer
      - .offset:         24
        .size:           32
        .value_kind:     by_value
      - .offset:         56
        .size:           4
        .value_kind:     by_value
    .group_segment_fixed_size: 0
    .kernarg_segment_align: 8
    .kernarg_segment_size: 60
    .language:       OpenCL C
    .language_version:
      - 2
      - 0
    .max_flat_workgroup_size: 256
    .name:           _ZN7rocprim6detail23histogram_global_kernelINS0_24wrapped_histogram_configINS_14default_configElLj1ELj1EEELj1ELj1EPlyNS0_18sample_to_bin_evenIlvEEEEvT2_jjNS0_11fixed_arrayIPT3_XT1_EEENS9_IT4_XT1_EEENS9_IjXT1_EEE
    .private_segment_fixed_size: 0
    .sgpr_count:     31
    .sgpr_spill_count: 0
    .symbol:         _ZN7rocprim6detail23histogram_global_kernelINS0_24wrapped_histogram_configINS_14default_configElLj1ELj1EEELj1ELj1EPlyNS0_18sample_to_bin_evenIlvEEEEvT2_jjNS0_11fixed_arrayIPT3_XT1_EEENS9_IT4_XT1_EEENS9_IjXT1_EEE.kd
    .uniform_work_group_size: 1
    .uses_dynamic_stack: false
    .vgpr_count:     24
    .vgpr_spill_count: 0
    .wavefront_size: 32
  - .args:
      - .address_space:  global
        .offset:         0
        .size:           8
        .value_kind:     global_buffer
      - .address_space:  global
        .offset:         8
        .size:           8
        .value_kind:     global_buffer
      - .offset:         16
        .size:           8
        .value_kind:     by_value
      - .offset:         24
        .size:           8
        .value_kind:     by_value
      - .offset:         32
        .size:           8
        .value_kind:     by_value
      - .offset:         40
        .size:           8
        .value_kind:     by_value
      - .offset:         48
        .size:           4
        .value_kind:     hidden_block_count_x
      - .offset:         52
        .size:           4
        .value_kind:     hidden_block_count_y
      - .offset:         56
        .size:           4
        .value_kind:     hidden_block_count_z
      - .offset:         60
        .size:           2
        .value_kind:     hidden_group_size_x
      - .offset:         62
        .size:           2
        .value_kind:     hidden_group_size_y
      - .offset:         64
        .size:           2
        .value_kind:     hidden_group_size_z
      - .offset:         66
        .size:           2
        .value_kind:     hidden_remainder_x
      - .offset:         68
        .size:           2
        .value_kind:     hidden_remainder_y
      - .offset:         70
        .size:           2
        .value_kind:     hidden_remainder_z
      - .offset:         88
        .size:           8
        .value_kind:     hidden_global_offset_x
      - .offset:         96
        .size:           8
        .value_kind:     hidden_global_offset_y
      - .offset:         104
        .size:           8
        .value_kind:     hidden_global_offset_z
      - .offset:         112
        .size:           2
        .value_kind:     hidden_grid_dims
      - .offset:         168
        .size:           4
        .value_kind:     hidden_dynamic_lds_size
    .group_segment_fixed_size: 0
    .kernarg_segment_align: 8
    .kernarg_segment_size: 304
    .language:       OpenCL C
    .language_version:
      - 2
      - 0
    .max_flat_workgroup_size: 256
    .name:           _ZN8rajaperf9algorithm24histogram_atomic_runtimeILl256EEEvPyPlllll
    .private_segment_fixed_size: 0
    .sgpr_count:     26
    .sgpr_spill_count: 0
    .symbol:         _ZN8rajaperf9algorithm24histogram_atomic_runtimeILl256EEEvPyPlllll.kd
    .uniform_work_group_size: 1
    .uses_dynamic_stack: false
    .vgpr_count:     12
    .vgpr_spill_count: 0
    .wavefront_size: 32
  - .args:
      - .offset:         0
        .size:           72
        .value_kind:     by_value
      - .offset:         72
        .size:           8
        .value_kind:     by_value
      - .offset:         80
        .size:           8
        .value_kind:     by_value
      - .offset:         88
        .size:           1
        .value_kind:     by_value
      - .offset:         96
        .size:           4
        .value_kind:     hidden_block_count_x
      - .offset:         100
        .size:           4
        .value_kind:     hidden_block_count_y
      - .offset:         104
        .size:           4
        .value_kind:     hidden_block_count_z
      - .offset:         108
        .size:           2
        .value_kind:     hidden_group_size_x
      - .offset:         110
        .size:           2
        .value_kind:     hidden_group_size_y
      - .offset:         112
        .size:           2
        .value_kind:     hidden_group_size_z
      - .offset:         114
        .size:           2
        .value_kind:     hidden_remainder_x
      - .offset:         116
        .size:           2
        .value_kind:     hidden_remainder_y
      - .offset:         118
        .size:           2
        .value_kind:     hidden_remainder_z
      - .offset:         136
        .size:           8
        .value_kind:     hidden_global_offset_x
      - .offset:         144
        .size:           8
        .value_kind:     hidden_global_offset_y
      - .offset:         152
        .size:           8
        .value_kind:     hidden_global_offset_z
      - .offset:         160
        .size:           2
        .value_kind:     hidden_grid_dims
      - .offset:         216
        .size:           4
        .value_kind:     hidden_dynamic_lds_size
    .group_segment_fixed_size: 0
    .kernarg_segment_align: 8
    .kernarg_segment_size: 352
    .language:       OpenCL C
    .language_version:
      - 2
      - 0
    .max_flat_workgroup_size: 256
    .name:           _ZN4RAJA6policy3hip4impl18forallp_hip_kernelINS1_8hip_execINS_17iteration_mapping6DirectENS_3hip11IndexGlobalILNS_9named_dimE0ELi256ELi0EEENS7_40AvoidDeviceMaxThreadOccupancyConcretizerINS7_34FractionOffsetOccupancyConcretizerINS_8FractionImLm1ELm1EEELln1EEEEELb1EEENS_9Iterators16numeric_iteratorIllPlEEZN8rajaperf9algorithm9HISTOGRAM26runHipVariantAtomicRuntimeILl256ELl32ELl4ENSM_11gpu_mapping20global_direct_helperEEEvNSM_9VariantIDEEUllE_lNS_4expt15ForallParamPackIJEEES6_SA_TnNSt9enable_ifIXaasr3std10is_base_ofINS5_10DirectBaseET4_EE5valuegtsrT5_10block_sizeLi0EEmE4typeELm256EEEvT1_T0_T2_T3_
    .private_segment_fixed_size: 0
    .sgpr_count:     26
    .sgpr_spill_count: 0
    .symbol:         _ZN4RAJA6policy3hip4impl18forallp_hip_kernelINS1_8hip_execINS_17iteration_mapping6DirectENS_3hip11IndexGlobalILNS_9named_dimE0ELi256ELi0EEENS7_40AvoidDeviceMaxThreadOccupancyConcretizerINS7_34FractionOffsetOccupancyConcretizerINS_8FractionImLm1ELm1EEELln1EEEEELb1EEENS_9Iterators16numeric_iteratorIllPlEEZN8rajaperf9algorithm9HISTOGRAM26runHipVariantAtomicRuntimeILl256ELl32ELl4ENSM_11gpu_mapping20global_direct_helperEEEvNSM_9VariantIDEEUllE_lNS_4expt15ForallParamPackIJEEES6_SA_TnNSt9enable_ifIXaasr3std10is_base_ofINS5_10DirectBaseET4_EE5valuegtsrT5_10block_sizeLi0EEmE4typeELm256EEEvT1_T0_T2_T3_.kd
    .uniform_work_group_size: 1
    .uses_dynamic_stack: false
    .vgpr_count:     10
    .vgpr_spill_count: 0
    .wavefront_size: 32
  - .args:
      - .offset:         0
        .size:           72
        .value_kind:     by_value
      - .offset:         72
        .size:           8
        .value_kind:     by_value
      - .offset:         80
        .size:           8
        .value_kind:     by_value
      - .offset:         88
        .size:           1
        .value_kind:     by_value
      - .offset:         96
        .size:           4
        .value_kind:     hidden_block_count_x
      - .offset:         100
        .size:           4
        .value_kind:     hidden_block_count_y
      - .offset:         104
        .size:           4
        .value_kind:     hidden_block_count_z
      - .offset:         108
        .size:           2
        .value_kind:     hidden_group_size_x
      - .offset:         110
        .size:           2
        .value_kind:     hidden_group_size_y
      - .offset:         112
        .size:           2
        .value_kind:     hidden_group_size_z
      - .offset:         114
        .size:           2
        .value_kind:     hidden_remainder_x
      - .offset:         116
        .size:           2
        .value_kind:     hidden_remainder_y
      - .offset:         118
        .size:           2
        .value_kind:     hidden_remainder_z
      - .offset:         136
        .size:           8
        .value_kind:     hidden_global_offset_x
      - .offset:         144
        .size:           8
        .value_kind:     hidden_global_offset_y
      - .offset:         152
        .size:           8
        .value_kind:     hidden_global_offset_z
      - .offset:         160
        .size:           2
        .value_kind:     hidden_grid_dims
      - .offset:         216
        .size:           4
        .value_kind:     hidden_dynamic_lds_size
    .group_segment_fixed_size: 0
    .kernarg_segment_align: 8
    .kernarg_segment_size: 352
    .language:       OpenCL C
    .language_version:
      - 2
      - 0
    .max_flat_workgroup_size: 256
    .name:           _ZN4RAJA6policy3hip4impl18forallp_hip_kernelINS1_8hip_execINS_17iteration_mapping11StridedLoopILm0EEENS_3hip11IndexGlobalILNS_9named_dimE0ELi256ELi0EEENS8_40AvoidDeviceMaxThreadOccupancyConcretizerINS8_34FractionOffsetOccupancyConcretizerINS_8FractionImLm1ELm1EEELln1EEEEELb1EEENS_9Iterators16numeric_iteratorIllPlEEZN8rajaperf9algorithm9HISTOGRAM26runHipVariantAtomicRuntimeILl256ELl32ELl4ENSN_11gpu_mapping40global_loop_occupancy_grid_stride_helperEEEvNSN_9VariantIDEEUllE_lNS_4expt15ForallParamPackIJEEES7_SB_TnNSt9enable_ifIXaaaasr3std10is_base_ofINS5_15StridedLoopBaseET4_EE5valuesr3std10is_base_ofINS5_15UnsizedLoopBaseES10_EE5valuegtsrT5_10block_sizeLi0EEmE4typeELm256EEEvT1_T0_T2_T3_
    .private_segment_fixed_size: 0
    .sgpr_count:     40
    .sgpr_spill_count: 0
    .symbol:         _ZN4RAJA6policy3hip4impl18forallp_hip_kernelINS1_8hip_execINS_17iteration_mapping11StridedLoopILm0EEENS_3hip11IndexGlobalILNS_9named_dimE0ELi256ELi0EEENS8_40AvoidDeviceMaxThreadOccupancyConcretizerINS8_34FractionOffsetOccupancyConcretizerINS_8FractionImLm1ELm1EEELln1EEEEELb1EEENS_9Iterators16numeric_iteratorIllPlEEZN8rajaperf9algorithm9HISTOGRAM26runHipVariantAtomicRuntimeILl256ELl32ELl4ENSN_11gpu_mapping40global_loop_occupancy_grid_stride_helperEEEvNSN_9VariantIDEEUllE_lNS_4expt15ForallParamPackIJEEES7_SB_TnNSt9enable_ifIXaaaasr3std10is_base_ofINS5_15StridedLoopBaseET4_EE5valuesr3std10is_base_ofINS5_15UnsizedLoopBaseES10_EE5valuegtsrT5_10block_sizeLi0EEmE4typeELm256EEEvT1_T0_T2_T3_.kd
    .uniform_work_group_size: 1
    .uses_dynamic_stack: false
    .vgpr_count:     15
    .vgpr_spill_count: 0
    .wavefront_size: 32
amdhsa.target:   amdgcn-amd-amdhsa--gfx1250
amdhsa.version:
  - 1
  - 2
...

	.end_amdgpu_metadata
